;; amdgpu-corpus repo=ROCm/rocFFT kind=compiled arch=gfx1030 opt=O3
	.text
	.amdgcn_target "amdgcn-amd-amdhsa--gfx1030"
	.amdhsa_code_object_version 6
	.protected	fft_rtc_back_len150_factors_10_5_3_wgs_60_tpt_5_halfLds_half_ip_CI_unitstride_sbrr_dirReg ; -- Begin function fft_rtc_back_len150_factors_10_5_3_wgs_60_tpt_5_halfLds_half_ip_CI_unitstride_sbrr_dirReg
	.globl	fft_rtc_back_len150_factors_10_5_3_wgs_60_tpt_5_halfLds_half_ip_CI_unitstride_sbrr_dirReg
	.p2align	8
	.type	fft_rtc_back_len150_factors_10_5_3_wgs_60_tpt_5_halfLds_half_ip_CI_unitstride_sbrr_dirReg,@function
fft_rtc_back_len150_factors_10_5_3_wgs_60_tpt_5_halfLds_half_ip_CI_unitstride_sbrr_dirReg: ; @fft_rtc_back_len150_factors_10_5_3_wgs_60_tpt_5_halfLds_half_ip_CI_unitstride_sbrr_dirReg
; %bb.0:
	s_load_dwordx4 s[8:11], s[4:5], 0x0
	v_mul_u32_u24_e32 v1, 0x3334, v0
	s_clause 0x1
	s_load_dwordx2 s[2:3], s[4:5], 0x50
	s_load_dwordx2 s[12:13], s[4:5], 0x18
	v_mov_b32_e32 v6, 0
	v_lshrrev_b32_e32 v1, 16, v1
	v_mad_u64_u32 v[4:5], null, s6, 12, v[1:2]
	v_mov_b32_e32 v5, v6
	v_mov_b32_e32 v1, 0
	;; [unrolled: 1-line block ×5, first 2 shown]
	s_waitcnt lgkmcnt(0)
	v_cmp_lt_u64_e64 s0, s[10:11], 2
	s_and_b32 vcc_lo, exec_lo, s0
	s_cbranch_vccnz .LBB0_8
; %bb.1:
	s_load_dwordx2 s[0:1], s[4:5], 0x10
	v_mov_b32_e32 v1, 0
	v_mov_b32_e32 v9, v5
	s_add_u32 s6, s12, 8
	v_mov_b32_e32 v2, 0
	v_mov_b32_e32 v8, v4
	s_addc_u32 s7, s13, 0
	s_mov_b64 s[16:17], 1
	s_waitcnt lgkmcnt(0)
	s_add_u32 s14, s0, 8
	s_addc_u32 s15, s1, 0
.LBB0_2:                                ; =>This Inner Loop Header: Depth=1
	s_load_dwordx2 s[18:19], s[14:15], 0x0
                                        ; implicit-def: $vgpr10_vgpr11
	s_mov_b32 s0, exec_lo
	s_waitcnt lgkmcnt(0)
	v_or_b32_e32 v7, s19, v9
	v_cmpx_ne_u64_e32 0, v[6:7]
	s_xor_b32 s1, exec_lo, s0
	s_cbranch_execz .LBB0_4
; %bb.3:                                ;   in Loop: Header=BB0_2 Depth=1
	v_cvt_f32_u32_e32 v3, s18
	v_cvt_f32_u32_e32 v5, s19
	s_sub_u32 s0, 0, s18
	s_subb_u32 s20, 0, s19
	v_fmac_f32_e32 v3, 0x4f800000, v5
	v_rcp_f32_e32 v3, v3
	v_mul_f32_e32 v3, 0x5f7ffffc, v3
	v_mul_f32_e32 v5, 0x2f800000, v3
	v_trunc_f32_e32 v5, v5
	v_fmac_f32_e32 v3, 0xcf800000, v5
	v_cvt_u32_f32_e32 v5, v5
	v_cvt_u32_f32_e32 v3, v3
	v_mul_lo_u32 v7, s0, v5
	v_mul_hi_u32 v10, s0, v3
	v_mul_lo_u32 v11, s20, v3
	v_add_nc_u32_e32 v7, v10, v7
	v_mul_lo_u32 v10, s0, v3
	v_add_nc_u32_e32 v7, v7, v11
	v_mul_hi_u32 v11, v3, v10
	v_mul_lo_u32 v12, v3, v7
	v_mul_hi_u32 v13, v3, v7
	v_mul_hi_u32 v14, v5, v10
	v_mul_lo_u32 v10, v5, v10
	v_mul_hi_u32 v15, v5, v7
	v_mul_lo_u32 v7, v5, v7
	v_add_co_u32 v11, vcc_lo, v11, v12
	v_add_co_ci_u32_e32 v12, vcc_lo, 0, v13, vcc_lo
	v_add_co_u32 v10, vcc_lo, v11, v10
	v_add_co_ci_u32_e32 v10, vcc_lo, v12, v14, vcc_lo
	v_add_co_ci_u32_e32 v11, vcc_lo, 0, v15, vcc_lo
	v_add_co_u32 v7, vcc_lo, v10, v7
	v_add_co_ci_u32_e32 v10, vcc_lo, 0, v11, vcc_lo
	v_add_co_u32 v3, vcc_lo, v3, v7
	v_add_co_ci_u32_e32 v5, vcc_lo, v5, v10, vcc_lo
	v_mul_hi_u32 v7, s0, v3
	v_mul_lo_u32 v11, s20, v3
	v_mul_lo_u32 v10, s0, v5
	v_add_nc_u32_e32 v7, v7, v10
	v_mul_lo_u32 v10, s0, v3
	v_add_nc_u32_e32 v7, v7, v11
	v_mul_hi_u32 v11, v3, v10
	v_mul_lo_u32 v12, v3, v7
	v_mul_hi_u32 v13, v3, v7
	v_mul_hi_u32 v14, v5, v10
	v_mul_lo_u32 v10, v5, v10
	v_mul_hi_u32 v15, v5, v7
	v_mul_lo_u32 v7, v5, v7
	v_add_co_u32 v11, vcc_lo, v11, v12
	v_add_co_ci_u32_e32 v12, vcc_lo, 0, v13, vcc_lo
	v_add_co_u32 v10, vcc_lo, v11, v10
	v_add_co_ci_u32_e32 v10, vcc_lo, v12, v14, vcc_lo
	v_add_co_ci_u32_e32 v11, vcc_lo, 0, v15, vcc_lo
	v_add_co_u32 v7, vcc_lo, v10, v7
	v_add_co_ci_u32_e32 v10, vcc_lo, 0, v11, vcc_lo
	v_add_co_u32 v3, vcc_lo, v3, v7
	v_add_co_ci_u32_e32 v5, vcc_lo, v5, v10, vcc_lo
	v_mul_hi_u32 v7, v8, v3
	v_mad_u64_u32 v[12:13], null, v9, v3, 0
	v_mad_u64_u32 v[10:11], null, v8, v5, 0
	v_mad_u64_u32 v[14:15], null, v9, v5, 0
	v_add_co_u32 v3, vcc_lo, v7, v10
	v_add_co_ci_u32_e32 v5, vcc_lo, 0, v11, vcc_lo
	v_add_co_u32 v3, vcc_lo, v3, v12
	v_add_co_ci_u32_e32 v3, vcc_lo, v5, v13, vcc_lo
	v_add_co_ci_u32_e32 v5, vcc_lo, 0, v15, vcc_lo
	v_add_co_u32 v3, vcc_lo, v3, v14
	v_add_co_ci_u32_e32 v5, vcc_lo, 0, v5, vcc_lo
	v_mul_lo_u32 v7, s19, v3
	v_mad_u64_u32 v[10:11], null, s18, v3, 0
	v_mul_lo_u32 v12, s18, v5
	v_sub_co_u32 v10, vcc_lo, v8, v10
	v_add3_u32 v7, v11, v12, v7
	v_sub_nc_u32_e32 v11, v9, v7
	v_subrev_co_ci_u32_e64 v11, s0, s19, v11, vcc_lo
	v_add_co_u32 v12, s0, v3, 2
	v_add_co_ci_u32_e64 v13, s0, 0, v5, s0
	v_sub_co_u32 v14, s0, v10, s18
	v_sub_co_ci_u32_e32 v7, vcc_lo, v9, v7, vcc_lo
	v_subrev_co_ci_u32_e64 v11, s0, 0, v11, s0
	v_cmp_le_u32_e32 vcc_lo, s18, v14
	v_cmp_eq_u32_e64 s0, s19, v7
	v_cndmask_b32_e64 v14, 0, -1, vcc_lo
	v_cmp_le_u32_e32 vcc_lo, s19, v11
	v_cndmask_b32_e64 v15, 0, -1, vcc_lo
	v_cmp_le_u32_e32 vcc_lo, s18, v10
	;; [unrolled: 2-line block ×3, first 2 shown]
	v_cndmask_b32_e64 v16, 0, -1, vcc_lo
	v_cmp_eq_u32_e32 vcc_lo, s19, v11
	v_cndmask_b32_e64 v7, v16, v10, s0
	v_cndmask_b32_e32 v11, v15, v14, vcc_lo
	v_add_co_u32 v14, vcc_lo, v3, 1
	v_add_co_ci_u32_e32 v15, vcc_lo, 0, v5, vcc_lo
	v_cmp_ne_u32_e32 vcc_lo, 0, v11
	v_cndmask_b32_e32 v10, v15, v13, vcc_lo
	v_cndmask_b32_e32 v12, v14, v12, vcc_lo
	v_cmp_ne_u32_e32 vcc_lo, 0, v7
	v_cndmask_b32_e32 v11, v5, v10, vcc_lo
	v_cndmask_b32_e32 v10, v3, v12, vcc_lo
.LBB0_4:                                ;   in Loop: Header=BB0_2 Depth=1
	s_andn2_saveexec_b32 s0, s1
	s_cbranch_execz .LBB0_6
; %bb.5:                                ;   in Loop: Header=BB0_2 Depth=1
	v_cvt_f32_u32_e32 v3, s18
	s_sub_i32 s1, 0, s18
	v_mov_b32_e32 v11, v6
	v_rcp_iflag_f32_e32 v3, v3
	v_mul_f32_e32 v3, 0x4f7ffffe, v3
	v_cvt_u32_f32_e32 v3, v3
	v_mul_lo_u32 v5, s1, v3
	v_mul_hi_u32 v5, v3, v5
	v_add_nc_u32_e32 v3, v3, v5
	v_mul_hi_u32 v3, v8, v3
	v_mul_lo_u32 v5, v3, s18
	v_add_nc_u32_e32 v7, 1, v3
	v_sub_nc_u32_e32 v5, v8, v5
	v_subrev_nc_u32_e32 v10, s18, v5
	v_cmp_le_u32_e32 vcc_lo, s18, v5
	v_cndmask_b32_e32 v5, v5, v10, vcc_lo
	v_cndmask_b32_e32 v3, v3, v7, vcc_lo
	v_cmp_le_u32_e32 vcc_lo, s18, v5
	v_add_nc_u32_e32 v7, 1, v3
	v_cndmask_b32_e32 v10, v3, v7, vcc_lo
.LBB0_6:                                ;   in Loop: Header=BB0_2 Depth=1
	s_or_b32 exec_lo, exec_lo, s0
	s_load_dwordx2 s[0:1], s[6:7], 0x0
	v_mul_lo_u32 v3, v11, s18
	v_mul_lo_u32 v5, v10, s19
	v_mad_u64_u32 v[12:13], null, v10, s18, 0
	s_add_u32 s16, s16, 1
	s_addc_u32 s17, s17, 0
	s_add_u32 s6, s6, 8
	s_addc_u32 s7, s7, 0
	;; [unrolled: 2-line block ×3, first 2 shown]
	v_add3_u32 v3, v13, v5, v3
	v_sub_co_u32 v5, vcc_lo, v8, v12
	v_sub_co_ci_u32_e32 v3, vcc_lo, v9, v3, vcc_lo
	s_waitcnt lgkmcnt(0)
	v_mul_lo_u32 v7, s1, v5
	v_mul_lo_u32 v3, s0, v3
	v_mad_u64_u32 v[1:2], null, s0, v5, v[1:2]
	v_cmp_ge_u64_e64 s0, s[16:17], s[10:11]
	s_and_b32 vcc_lo, exec_lo, s0
	v_add3_u32 v2, v7, v2, v3
	s_cbranch_vccnz .LBB0_8
; %bb.7:                                ;   in Loop: Header=BB0_2 Depth=1
	v_mov_b32_e32 v8, v10
	v_mov_b32_e32 v9, v11
	s_branch .LBB0_2
.LBB0_8:
	s_lshl_b64 s[0:1], s[10:11], 3
	v_mul_hi_u32 v3, 0x33333334, v0
	s_add_u32 s0, s12, s0
	s_addc_u32 s1, s13, s1
	s_load_dwordx2 s[0:1], s[0:1], 0x0
	s_load_dwordx2 s[4:5], s[4:5], 0x20
	v_mul_u32_u24_e32 v3, 5, v3
	v_sub_nc_u32_e32 v0, v0, v3
	v_or_b32_e32 v7, 40, v0
	v_or_b32_e32 v8, 0x50, v0
	s_waitcnt lgkmcnt(0)
	v_mul_lo_u32 v5, s0, v11
	v_mul_lo_u32 v6, s1, v10
	v_mad_u64_u32 v[1:2], null, s0, v10, v[1:2]
	v_cmp_gt_u64_e32 vcc_lo, s[4:5], v[10:11]
	v_cmp_le_u64_e64 s0, s[4:5], v[10:11]
	v_add3_u32 v2, v6, v2, v5
	s_and_saveexec_b32 s1, s0
	s_xor_b32 s0, exec_lo, s1
; %bb.9:
	v_or_b32_e32 v7, 40, v0
	v_or_b32_e32 v8, 0x50, v0
; %bb.10:
	s_or_saveexec_b32 s1, s0
	v_lshlrev_b64 v[2:3], 2, v[1:2]
                                        ; implicit-def: $vgpr10
                                        ; implicit-def: $vgpr16
                                        ; implicit-def: $vgpr20
                                        ; implicit-def: $vgpr25
                                        ; implicit-def: $vgpr11
                                        ; implicit-def: $vgpr14
                                        ; implicit-def: $vgpr21
                                        ; implicit-def: $vgpr19
                                        ; implicit-def: $vgpr12
                                        ; implicit-def: $vgpr15
                                        ; implicit-def: $vgpr22
                                        ; implicit-def: $vgpr18
                                        ; implicit-def: $vgpr17
                                        ; implicit-def: $vgpr13
                                        ; implicit-def: $vgpr23
                                        ; implicit-def: $vgpr24
                                        ; implicit-def: $vgpr9
                                        ; implicit-def: $vgpr5
                                        ; implicit-def: $vgpr6
                                        ; implicit-def: $vgpr1
                                        ; implicit-def: $vgpr37
                                        ; implicit-def: $vgpr39
                                        ; implicit-def: $vgpr62
                                        ; implicit-def: $vgpr61
                                        ; implicit-def: $vgpr43
                                        ; implicit-def: $vgpr38
                                        ; implicit-def: $vgpr63
                                        ; implicit-def: $vgpr59
                                        ; implicit-def: $vgpr49
                                        ; implicit-def: $vgpr36
                                        ; implicit-def: $vgpr64
                                        ; implicit-def: $vgpr58
                                        ; implicit-def: $vgpr52
                                        ; implicit-def: $vgpr35
                                        ; implicit-def: $vgpr65
                                        ; implicit-def: $vgpr60
                                        ; implicit-def: $vgpr31
                                        ; implicit-def: $vgpr27
                                        ; implicit-def: $vgpr28
                                        ; implicit-def: $vgpr26
                                        ; implicit-def: $vgpr42
                                        ; implicit-def: $vgpr34
                                        ; implicit-def: $vgpr54
                                        ; implicit-def: $vgpr53
                                        ; implicit-def: $vgpr44
                                        ; implicit-def: $vgpr33
                                        ; implicit-def: $vgpr55
                                        ; implicit-def: $vgpr50
                                        ; implicit-def: $vgpr45
                                        ; implicit-def: $vgpr32
                                        ; implicit-def: $vgpr56
                                        ; implicit-def: $vgpr48
                                        ; implicit-def: $vgpr47
                                        ; implicit-def: $vgpr30
                                        ; implicit-def: $vgpr57
                                        ; implicit-def: $vgpr51
                                        ; implicit-def: $vgpr41
                                        ; implicit-def: $vgpr29
                                        ; implicit-def: $vgpr46
                                        ; implicit-def: $vgpr40
	s_xor_b32 exec_lo, exec_lo, s1
	s_cbranch_execz .LBB0_12
; %bb.11:
	v_mov_b32_e32 v1, 0
	v_lshlrev_b64 v[5:6], 2, v[0:1]
	v_add_co_u32 v1, s0, s2, v2
	v_add_co_ci_u32_e64 v10, s0, s3, v3, s0
	v_add_co_u32 v9, s0, v1, v5
	v_add_co_ci_u32_e64 v10, s0, v10, v6, s0
	s_clause 0x1d
	global_load_dword v29, v[9:10], off offset:60
	global_load_dword v51, v[9:10], off offset:120
	global_load_dword v40, v[9:10], off
	global_load_dword v30, v[9:10], off offset:180
	global_load_dword v48, v[9:10], off offset:240
	;; [unrolled: 1-line block ×27, first 2 shown]
	s_waitcnt vmcnt(29)
	v_lshrrev_b32_e32 v41, 16, v29
	s_waitcnt vmcnt(28)
	v_lshrrev_b32_e32 v57, 16, v51
	;; [unrolled: 2-line block ×30, first 2 shown]
.LBB0_12:
	s_or_b32 exec_lo, exec_lo, s1
	v_mul_hi_u32 v66, 0xaaaaaaab, v4
	v_add_f16_e32 v68, v50, v48
	v_add_f16_e32 v67, v51, v40
	v_sub_f16_e32 v69, v57, v54
	v_add_f16_e32 v73, v53, v51
	v_sub_f16_e32 v70, v56, v55
	v_fma_f16 v68, -0.5, v68, v40
	v_sub_f16_e32 v71, v51, v48
	v_lshrrev_b32_e32 v66, 3, v66
	v_sub_f16_e32 v72, v53, v50
	v_add_f16_e32 v67, v48, v67
	v_add_f16_e32 v76, v57, v46
	v_fmamk_f16 v77, v69, 0xbb9c, v68
	v_mul_lo_u32 v66, v66, 12
	v_fmac_f16_e32 v40, -0.5, v73
	v_fmac_f16_e32 v68, 0x3b9c, v69
	v_add_f16_e32 v71, v72, v71
	v_add_f16_e32 v67, v50, v67
	v_fmac_f16_e32 v77, 0xb8b4, v70
	v_add_f16_e32 v72, v55, v56
	v_fmac_f16_e32 v68, 0x38b4, v70
	v_sub_nc_u32_e32 v4, v4, v66
	v_fmamk_f16 v66, v70, 0x3b9c, v40
	v_fmac_f16_e32 v40, 0xbb9c, v70
	v_add_f16_e32 v70, v56, v76
	v_sub_f16_e32 v74, v48, v51
	v_sub_f16_e32 v75, v50, v53
	v_add_f16_e32 v67, v53, v67
	v_fma_f16 v72, -0.5, v72, v46
	v_sub_f16_e32 v51, v51, v53
	v_add_f16_e32 v53, v55, v70
	v_add_f16_e32 v70, v54, v57
	v_fmac_f16_e32 v77, 0x34f2, v71
	v_fmac_f16_e32 v66, 0xb8b4, v69
	;; [unrolled: 1-line block ×4, first 2 shown]
	v_fmamk_f16 v69, v51, 0x3b9c, v72
	v_sub_f16_e32 v48, v48, v50
	v_sub_f16_e32 v50, v57, v56
	;; [unrolled: 1-line block ×3, first 2 shown]
	v_fmac_f16_e32 v46, -0.5, v70
	v_add_f16_e32 v70, v54, v53
	v_fmac_f16_e32 v72, 0xbb9c, v51
	v_sub_f16_e32 v54, v55, v54
	v_add_f16_e32 v55, v30, v29
	v_fmac_f16_e32 v69, 0x38b4, v48
	v_add_f16_e32 v50, v71, v50
	v_fmamk_f16 v71, v48, 0xbb9c, v46
	v_sub_f16_e32 v53, v56, v57
	v_fmac_f16_e32 v72, 0xb8b4, v48
	v_fmac_f16_e32 v46, 0x3b9c, v48
	v_add_f16_e32 v48, v32, v55
	v_fmac_f16_e32 v71, 0x38b4, v51
	v_add_f16_e32 v53, v54, v53
	v_add_f16_e32 v54, v33, v32
	v_fmac_f16_e32 v46, 0xb8b4, v51
	v_add_f16_e32 v48, v33, v48
	v_add_f16_e32 v51, v34, v30
	v_fmac_f16_e32 v69, 0x34f2, v50
	v_fmac_f16_e32 v72, 0x34f2, v50
	;; [unrolled: 1-line block ×3, first 2 shown]
	v_fma_f16 v50, -0.5, v54, v29
	v_sub_f16_e32 v54, v47, v42
	v_fmac_f16_e32 v46, 0x34f2, v53
	v_add_f16_e32 v53, v34, v48
	v_sub_f16_e32 v48, v45, v44
	v_fmac_f16_e32 v29, -0.5, v51
	v_add_f16_e32 v73, v75, v74
	v_fmamk_f16 v51, v54, 0xbb9c, v50
	v_sub_f16_e32 v55, v30, v32
	v_sub_f16_e32 v56, v34, v33
	v_fmac_f16_e32 v50, 0x3b9c, v54
	v_fmamk_f16 v57, v48, 0x3b9c, v29
	v_fmac_f16_e32 v29, 0xbb9c, v48
	v_fmac_f16_e32 v66, 0x34f2, v73
	;; [unrolled: 1-line block ×3, first 2 shown]
	v_sub_f16_e32 v73, v32, v30
	v_sub_f16_e32 v74, v33, v34
	v_fmac_f16_e32 v51, 0xb8b4, v48
	v_add_f16_e32 v55, v56, v55
	v_fmac_f16_e32 v50, 0x38b4, v48
	v_fmac_f16_e32 v57, 0xb8b4, v54
	v_add_f16_e32 v48, v44, v45
	v_fmac_f16_e32 v29, 0x38b4, v54
	v_add_f16_e32 v54, v42, v47
	v_add_f16_e32 v56, v74, v73
	v_fmac_f16_e32 v51, 0x34f2, v55
	v_fmac_f16_e32 v50, 0x34f2, v55
	v_fma_f16 v55, -0.5, v48, v41
	v_sub_f16_e32 v30, v30, v34
	v_add_f16_e32 v34, v47, v41
	v_sub_f16_e32 v32, v32, v33
	v_fmac_f16_e32 v41, -0.5, v54
	v_fmac_f16_e32 v57, 0x34f2, v56
	v_fmac_f16_e32 v29, 0x34f2, v56
	v_fmamk_f16 v33, v30, 0x3b9c, v55
	v_sub_f16_e32 v48, v47, v45
	v_sub_f16_e32 v54, v42, v44
	v_fmamk_f16 v56, v32, 0xbb9c, v41
	v_sub_f16_e32 v47, v45, v47
	v_sub_f16_e32 v73, v44, v42
	v_fmac_f16_e32 v55, 0xbb9c, v30
	v_fmac_f16_e32 v41, 0x3b9c, v32
	v_add_f16_e32 v48, v54, v48
	v_fmac_f16_e32 v56, 0x38b4, v30
	v_add_f16_e32 v47, v73, v47
	v_fmac_f16_e32 v55, 0xb8b4, v32
	v_fmac_f16_e32 v41, 0xb8b4, v30
	;; [unrolled: 1-line block ×3, first 2 shown]
	v_add_f16_e32 v30, v45, v34
	v_fmac_f16_e32 v56, 0x34f2, v47
	v_fmac_f16_e32 v55, 0x34f2, v48
	;; [unrolled: 1-line block ×4, first 2 shown]
	v_add_f16_e32 v30, v44, v30
	v_mul_f16_e32 v73, 0xbb9c, v56
	v_mul_f16_e32 v75, 0xb8b4, v55
	;; [unrolled: 1-line block ×5, first 2 shown]
	v_fmac_f16_e32 v73, 0x34f2, v57
	v_fmac_f16_e32 v75, 0xba79, v50
	v_mul_f16_e32 v78, 0x3b9c, v57
	v_mul_f16_e32 v79, 0xb4f2, v41
	v_fmac_f16_e32 v80, 0x38b4, v50
	v_add_f16_e32 v41, v59, v58
	v_add_f16_e32 v50, v60, v26
	v_mul_f16_e32 v54, 0xb8b4, v33
	v_add_f16_e32 v42, v42, v30
	v_fmac_f16_e32 v74, 0xb4f2, v29
	v_add_f16_e32 v44, v53, v67
	v_add_f16_e32 v47, v66, v73
	v_fmac_f16_e32 v76, 0x3a79, v33
	v_fmac_f16_e32 v78, 0x34f2, v56
	v_sub_f16_e32 v53, v67, v53
	v_sub_f16_e32 v57, v66, v73
	v_fma_f16 v66, -0.5, v41, v26
	v_sub_f16_e32 v67, v65, v62
	v_add_f16_e32 v50, v58, v50
	v_add_f16_e32 v73, v61, v60
	v_fmac_f16_e32 v54, 0x3a79, v51
	v_add_f16_e32 v48, v40, v74
	v_add_f16_e32 v51, v68, v75
	;; [unrolled: 1-line block ×5, first 2 shown]
	v_sub_f16_e32 v55, v40, v74
	v_sub_f16_e32 v56, v68, v75
	;; [unrolled: 1-line block ×5, first 2 shown]
	v_fmamk_f16 v68, v67, 0xbb9c, v66
	v_sub_f16_e32 v69, v64, v63
	v_sub_f16_e32 v70, v60, v58
	;; [unrolled: 1-line block ×3, first 2 shown]
	v_add_f16_e32 v74, v59, v50
	v_fmac_f16_e32 v26, -0.5, v73
	v_fmac_f16_e32 v66, 0x3b9c, v67
	v_add_f16_e32 v75, v65, v28
	v_fmac_f16_e32 v79, 0x3b9c, v29
	v_add_f16_e32 v29, v72, v80
	;; [unrolled: 2-line block ×3, first 2 shown]
	v_sub_f16_e32 v50, v72, v80
	v_add_f16_e32 v71, v61, v74
	v_fmamk_f16 v72, v69, 0x3b9c, v26
	v_sub_f16_e32 v73, v58, v60
	v_sub_f16_e32 v74, v59, v61
	v_fmac_f16_e32 v66, 0x38b4, v69
	v_add_f16_e32 v76, v63, v64
	v_fmac_f16_e32 v26, 0xbb9c, v69
	v_add_f16_e32 v69, v64, v75
	v_add_f16_e32 v73, v74, v73
	v_sub_f16_e32 v60, v60, v61
	v_fma_f16 v74, -0.5, v76, v28
	v_fmac_f16_e32 v68, 0x34f2, v70
	v_add_f16_e32 v61, v63, v69
	v_add_f16_e32 v69, v62, v65
	v_fmac_f16_e32 v72, 0xb8b4, v67
	v_fmac_f16_e32 v66, 0x34f2, v70
	v_fmac_f16_e32 v26, 0x38b4, v67
	v_fmamk_f16 v67, v60, 0x3b9c, v74
	v_sub_f16_e32 v58, v58, v59
	v_sub_f16_e32 v70, v62, v63
	v_fmac_f16_e32 v28, -0.5, v69
	v_add_f16_e32 v61, v62, v61
	v_fmac_f16_e32 v74, 0xbb9c, v60
	v_sub_f16_e32 v62, v63, v62
	v_add_f16_e32 v63, v35, v27
	v_sub_f16_e32 v59, v65, v64
	v_fmac_f16_e32 v67, 0x38b4, v58
	v_fmamk_f16 v69, v58, 0xbb9c, v28
	v_sub_f16_e32 v64, v64, v65
	v_fmac_f16_e32 v74, 0xb8b4, v58
	v_fmac_f16_e32 v28, 0x3b9c, v58
	v_add_f16_e32 v58, v36, v63
	v_add_f16_e32 v59, v70, v59
	v_fmac_f16_e32 v69, 0x38b4, v60
	v_add_f16_e32 v62, v62, v64
	v_add_f16_e32 v63, v38, v36
	;; [unrolled: 3-line block ×3, first 2 shown]
	v_fmac_f16_e32 v67, 0x34f2, v59
	v_fmac_f16_e32 v74, 0x34f2, v59
	;; [unrolled: 1-line block ×3, first 2 shown]
	v_fma_f16 v59, -0.5, v63, v27
	v_sub_f16_e32 v63, v52, v37
	v_fmac_f16_e32 v28, 0x34f2, v62
	v_add_f16_e32 v62, v39, v58
	v_sub_f16_e32 v58, v49, v43
	v_fmac_f16_e32 v27, -0.5, v60
	v_fmamk_f16 v60, v63, 0xbb9c, v59
	v_fmac_f16_e32 v59, 0x3b9c, v63
	v_fmac_f16_e32 v72, 0x34f2, v73
	;; [unrolled: 1-line block ×3, first 2 shown]
	v_fmamk_f16 v70, v58, 0x3b9c, v27
	v_fmac_f16_e32 v27, 0xbb9c, v58
	v_sub_f16_e32 v64, v35, v36
	v_sub_f16_e32 v65, v39, v38
	;; [unrolled: 1-line block ×4, first 2 shown]
	v_fmac_f16_e32 v60, 0xb8b4, v58
	v_fmac_f16_e32 v59, 0x38b4, v58
	;; [unrolled: 1-line block ×3, first 2 shown]
	v_add_f16_e32 v58, v43, v49
	v_fmac_f16_e32 v27, 0x38b4, v63
	v_add_f16_e32 v63, v37, v52
	v_add_f16_e32 v64, v65, v64
	;; [unrolled: 1-line block ×3, first 2 shown]
	v_fma_f16 v58, -0.5, v58, v31
	v_sub_f16_e32 v35, v35, v39
	v_add_f16_e32 v39, v52, v31
	v_sub_f16_e32 v36, v36, v38
	v_fmac_f16_e32 v31, -0.5, v63
	v_fmac_f16_e32 v60, 0x34f2, v64
	v_fmac_f16_e32 v59, 0x34f2, v64
	;; [unrolled: 1-line block ×4, first 2 shown]
	v_fmamk_f16 v63, v35, 0x3b9c, v58
	v_sub_f16_e32 v38, v52, v49
	v_sub_f16_e32 v64, v37, v43
	v_fmamk_f16 v65, v36, 0xbb9c, v31
	v_sub_f16_e32 v52, v49, v52
	v_sub_f16_e32 v73, v43, v37
	v_fmac_f16_e32 v31, 0x3b9c, v36
	v_fmac_f16_e32 v63, 0x38b4, v36
	v_add_f16_e32 v38, v64, v38
	v_fmac_f16_e32 v65, 0x38b4, v35
	v_add_f16_e32 v52, v73, v52
	v_fmac_f16_e32 v58, 0xbb9c, v35
	v_fmac_f16_e32 v31, 0xb8b4, v35
	v_add_f16_e32 v35, v49, v39
	v_fmac_f16_e32 v63, 0x34f2, v38
	v_fmac_f16_e32 v65, 0x34f2, v52
	;; [unrolled: 1-line block ×4, first 2 shown]
	v_add_f16_e32 v35, v43, v35
	v_mul_f16_e32 v39, 0xb8b4, v63
	v_mul_f16_e32 v43, 0xbb9c, v65
	v_fmac_f16_e32 v58, 0x34f2, v38
	v_mul_f16_e32 v64, 0xbb9c, v31
	v_add_f16_e32 v73, v37, v35
	v_fmac_f16_e32 v39, 0x3a79, v60
	v_fmac_f16_e32 v43, 0x34f2, v70
	v_mul_f16_e32 v75, 0xb8b4, v58
	v_mul_f16_e32 v76, 0x38b4, v60
	;; [unrolled: 1-line block ×3, first 2 shown]
	v_add_f16_e32 v60, v19, v18
	v_add_f16_e32 v45, v77, v54
	v_sub_f16_e32 v54, v77, v54
	v_fmac_f16_e32 v64, 0xb4f2, v27
	v_add_f16_e32 v35, v62, v71
	v_add_f16_e32 v36, v68, v39
	v_fmac_f16_e32 v75, 0xba79, v59
	v_mul_f16_e32 v77, 0xb4f2, v31
	v_mul_f16_e32 v78, 0xba79, v58
	v_fmac_f16_e32 v76, 0x3a79, v63
	v_fmac_f16_e32 v70, 0x34f2, v65
	v_add_f16_e32 v49, v73, v61
	v_sub_f16_e32 v63, v71, v62
	v_sub_f16_e32 v39, v68, v39
	v_add_f16_e32 v65, v24, v1
	v_fma_f16 v68, -0.5, v60, v1
	v_sub_f16_e32 v71, v23, v20
	v_sub_f16_e32 v60, v61, v73
	v_add_f16_e32 v73, v25, v24
	v_add_f16_e32 v37, v72, v43
	v_add_f16_e32 v38, v26, v64
	v_add_f16_e32 v31, v66, v75
	v_fmac_f16_e32 v77, 0x3b9c, v27
	v_fmac_f16_e32 v78, 0x38b4, v59
	v_add_f16_e32 v52, v67, v76
	v_add_f16_e32 v58, v69, v70
	v_sub_f16_e32 v43, v72, v43
	v_sub_f16_e32 v26, v26, v64
	;; [unrolled: 1-line block ×5, first 2 shown]
	v_add_f16_e32 v66, v18, v65
	v_fmamk_f16 v67, v71, 0xbb9c, v68
	v_sub_f16_e32 v69, v22, v21
	v_sub_f16_e32 v70, v24, v18
	;; [unrolled: 1-line block ×3, first 2 shown]
	v_fmac_f16_e32 v1, -0.5, v73
	v_fmac_f16_e32 v68, 0x3b9c, v71
	v_add_f16_e32 v75, v23, v6
	v_add_f16_e32 v59, v28, v77
	;; [unrolled: 1-line block ×3, first 2 shown]
	v_sub_f16_e32 v65, v28, v77
	v_add_f16_e32 v28, v19, v66
	v_fmac_f16_e32 v67, 0xb8b4, v69
	v_add_f16_e32 v70, v72, v70
	v_sub_f16_e32 v66, v74, v78
	v_fmamk_f16 v72, v69, 0x3b9c, v1
	v_sub_f16_e32 v73, v18, v24
	v_sub_f16_e32 v74, v19, v25
	v_fmac_f16_e32 v68, 0x38b4, v69
	v_add_f16_e32 v76, v21, v22
	v_fmac_f16_e32 v1, 0xbb9c, v69
	v_add_f16_e32 v69, v22, v75
	v_add_f16_e32 v28, v25, v28
	v_fmac_f16_e32 v67, 0x34f2, v70
	v_add_f16_e32 v73, v74, v73
	v_fma_f16 v74, -0.5, v76, v6
	v_sub_f16_e32 v24, v24, v25
	v_fmac_f16_e32 v68, 0x34f2, v70
	v_add_f16_e32 v25, v21, v69
	v_add_f16_e32 v70, v20, v23
	v_fmac_f16_e32 v72, 0xb8b4, v71
	v_fmac_f16_e32 v1, 0x38b4, v71
	v_fmamk_f16 v69, v24, 0x3b9c, v74
	v_sub_f16_e32 v18, v18, v19
	v_sub_f16_e32 v19, v23, v22
	;; [unrolled: 1-line block ×3, first 2 shown]
	v_fmac_f16_e32 v6, -0.5, v70
	v_add_f16_e32 v25, v20, v25
	v_fmac_f16_e32 v74, 0xbb9c, v24
	v_sub_f16_e32 v20, v21, v20
	v_add_f16_e32 v21, v13, v5
	v_fmac_f16_e32 v69, 0x38b4, v18
	v_add_f16_e32 v19, v71, v19
	v_fmamk_f16 v70, v18, 0xbb9c, v6
	v_sub_f16_e32 v22, v22, v23
	v_fmac_f16_e32 v74, 0xb8b4, v18
	v_fmac_f16_e32 v6, 0x3b9c, v18
	v_add_f16_e32 v18, v15, v21
	v_add_f16_e32 v21, v14, v15
	v_fmac_f16_e32 v69, 0x34f2, v19
	v_fmac_f16_e32 v70, 0x38b4, v24
	v_add_f16_e32 v20, v20, v22
	v_fmac_f16_e32 v74, 0x34f2, v19
	v_fmac_f16_e32 v6, 0xb8b4, v24
	v_fma_f16 v19, -0.5, v21, v5
	v_add_f16_e32 v21, v16, v13
	v_fmac_f16_e32 v70, 0x34f2, v20
	v_sub_f16_e32 v22, v17, v10
	v_fmac_f16_e32 v6, 0x34f2, v20
	v_sub_f16_e32 v20, v12, v11
	v_fmac_f16_e32 v5, -0.5, v21
	v_fmac_f16_e32 v72, 0x34f2, v73
	v_fmamk_f16 v21, v22, 0xbb9c, v19
	v_fmac_f16_e32 v19, 0x3b9c, v22
	v_fmac_f16_e32 v1, 0x34f2, v73
	v_fmamk_f16 v71, v20, 0x3b9c, v5
	v_fmac_f16_e32 v5, 0xbb9c, v20
	v_add_f16_e32 v18, v14, v18
	v_sub_f16_e32 v23, v13, v15
	v_sub_f16_e32 v24, v16, v14
	;; [unrolled: 1-line block ×4, first 2 shown]
	v_fmac_f16_e32 v21, 0xb8b4, v20
	v_fmac_f16_e32 v19, 0x38b4, v20
	;; [unrolled: 1-line block ×3, first 2 shown]
	v_add_f16_e32 v20, v11, v12
	v_fmac_f16_e32 v5, 0x38b4, v22
	v_add_f16_e32 v22, v10, v17
	v_add_f16_e32 v18, v16, v18
	;; [unrolled: 1-line block ×4, first 2 shown]
	v_fma_f16 v20, -0.5, v20, v9
	v_sub_f16_e32 v13, v13, v16
	v_add_f16_e32 v16, v17, v9
	v_sub_f16_e32 v14, v15, v14
	v_fmac_f16_e32 v9, -0.5, v22
	v_fmac_f16_e32 v21, 0x34f2, v23
	v_fmac_f16_e32 v19, 0x34f2, v23
	v_fmac_f16_e32 v71, 0x34f2, v24
	v_fmac_f16_e32 v5, 0x34f2, v24
	v_fmamk_f16 v15, v13, 0x3b9c, v20
	v_sub_f16_e32 v22, v17, v12
	v_sub_f16_e32 v23, v10, v11
	v_fmamk_f16 v24, v14, 0xbb9c, v9
	v_sub_f16_e32 v17, v12, v17
	v_sub_f16_e32 v73, v11, v10
	v_fmac_f16_e32 v9, 0x3b9c, v14
	v_fmac_f16_e32 v15, 0x38b4, v14
	v_add_f16_e32 v22, v23, v22
	v_fmac_f16_e32 v24, 0x38b4, v13
	v_add_f16_e32 v17, v73, v17
	v_fmac_f16_e32 v9, 0xb8b4, v13
	v_fmac_f16_e32 v20, 0xbb9c, v13
	v_add_f16_e32 v12, v12, v16
	v_fmac_f16_e32 v15, 0x34f2, v22
	v_fmac_f16_e32 v24, 0x34f2, v17
	;; [unrolled: 1-line block ×4, first 2 shown]
	v_mul_u32_u24_e32 v4, 0x96, v4
	v_add_f16_e32 v11, v11, v12
	v_mul_f16_e32 v12, 0xb8b4, v15
	v_mul_f16_e32 v13, 0xbb9c, v24
	;; [unrolled: 1-line block ×3, first 2 shown]
	v_fmac_f16_e32 v20, 0x34f2, v22
	v_add_f16_e32 v10, v10, v11
	v_fmac_f16_e32 v12, 0x3a79, v21
	v_fmac_f16_e32 v13, 0x34f2, v71
	;; [unrolled: 1-line block ×3, first 2 shown]
	v_mul_f16_e32 v11, 0xb8b4, v20
	v_mul_f16_e32 v21, 0x38b4, v21
	;; [unrolled: 1-line block ×4, first 2 shown]
	v_lshlrev_b32_e32 v4, 1, v4
	v_add_f16_e32 v16, v18, v28
	v_add_f16_e32 v22, v72, v13
	;; [unrolled: 1-line block ×3, first 2 shown]
	v_fmac_f16_e32 v11, 0xba79, v19
	v_mul_f16_e32 v20, 0xba79, v20
	v_fmac_f16_e32 v21, 0x3a79, v15
	v_fmac_f16_e32 v71, 0x34f2, v24
	;; [unrolled: 1-line block ×3, first 2 shown]
	v_add_f16_e32 v75, v10, v25
	v_sub_f16_e32 v15, v28, v18
	v_sub_f16_e32 v18, v72, v13
	;; [unrolled: 1-line block ×4, first 2 shown]
	v_mul_u32_u24_e32 v10, 10, v0
	v_add_nc_u32_e32 v13, 0, v4
	v_add_f16_e32 v17, v67, v12
	v_add_f16_e32 v73, v68, v11
	v_fmac_f16_e32 v20, 0x38b4, v19
	v_add_f16_e32 v5, v70, v71
	v_add_f16_e32 v77, v6, v9
	v_sub_f16_e32 v12, v67, v12
	v_sub_f16_e32 v11, v68, v11
	;; [unrolled: 1-line block ×4, first 2 shown]
	v_lshl_add_u32 v70, v10, 1, v13
	v_pack_b32_f16 v6, v47, v48
	v_pack_b32_f16 v9, v44, v45
	;; [unrolled: 1-line block ×4, first 2 shown]
	v_add_f16_e32 v34, v46, v79
	v_add_f16_e32 v76, v69, v21
	;; [unrolled: 1-line block ×3, first 2 shown]
	v_sub_f16_e32 v21, v69, v21
	v_sub_f16_e32 v69, v74, v20
	v_pack_b32_f16 v20, v37, v38
	v_pack_b32_f16 v24, v35, v36
	ds_write2_b32 v70, v9, v6 offset1:1
	ds_write2_b32 v70, v19, v10 offset0:2 offset1:3
	v_pack_b32_f16 v9, v55, v56
	v_pack_b32_f16 v10, v26, v64
	v_lshlrev_b32_e32 v6, 1, v0
	v_pack_b32_f16 v25, v39, v43
	v_pack_b32_f16 v28, v31, v63
	;; [unrolled: 1-line block ×7, first 2 shown]
	ds_write2_b32 v70, v24, v20 offset0:25 offset1:26
	ds_write2_b32 v70, v28, v25 offset0:27 offset1:28
	;; [unrolled: 1-line block ×5, first 2 shown]
	ds_write_b32 v70, v1 offset:216
	v_add_nc_u32_e32 v10, v13, v6
	v_add3_u32 v9, 0, v6, v4
	v_pack_b32_f16 v4, v33, v34
	v_pack_b32_f16 v11, v30, v32
	;; [unrolled: 1-line block ×6, first 2 shown]
	s_waitcnt lgkmcnt(0)
	s_barrier
	buffer_gl0_inv
	ds_read_u16 v20, v10
	ds_read_u16 v19, v9 offset:10
	ds_read_u16 v18, v9 offset:20
	;; [unrolled: 1-line block ×7, first 2 shown]
	v_lshl_add_u32 v1, v7, 1, v13
	ds_read_u16 v23, v9 offset:90
	ds_read_u16 v38, v9 offset:100
	;; [unrolled: 1-line block ×20, first 2 shown]
	ds_read_u16 v57, v1
	ds_read_u16 v31, v9 offset:290
	s_waitcnt lgkmcnt(0)
	s_barrier
	buffer_gl0_inv
	ds_write2_b32 v70, v11, v4 offset1:1
	ds_write2_b32 v70, v22, v12 offset0:2 offset1:3
	ds_write2_b32 v70, v30, v29 offset0:25 offset1:26
	v_pack_b32_f16 v11, v61, v62
	v_pack_b32_f16 v12, v27, v60
	;; [unrolled: 1-line block ×3, first 2 shown]
	v_lshlrev_b32_e32 v4, 2, v0
	v_mov_b32_e32 v5, 0
	v_sub_f16_e32 v46, v46, v79
	ds_write2_b32 v70, v12, v11 offset0:27 offset1:28
	v_pack_b32_f16 v27, v65, v66
	v_pack_b32_f16 v30, v75, v76
	v_lshlrev_b64 v[11:12], 2, v[4:5]
	v_pack_b32_f16 v22, v46, v50
	v_pack_b32_f16 v4, v68, v69
	;; [unrolled: 1-line block ×4, first 2 shown]
	ds_write2_b32 v70, v22, v27 offset0:4 offset1:29
	ds_write2_b32 v70, v30, v29 offset0:50 offset1:51
	;; [unrolled: 1-line block ×3, first 2 shown]
	v_add_co_u32 v11, s0, s8, v11
	v_add_co_ci_u32_e64 v12, s0, s9, v12, s0
	ds_write_b32 v70, v4 offset:216
	s_waitcnt lgkmcnt(0)
	s_barrier
	buffer_gl0_inv
	global_load_dwordx4 v[58:61], v[11:12], off
	v_add_nc_u32_e32 v11, 5, v0
	v_add_nc_u32_e32 v14, 20, v0
	;; [unrolled: 1-line block ×3, first 2 shown]
	v_lshlrev_b32_e32 v4, 2, v11
	v_lshlrev_b64 v[21:22], 2, v[4:5]
	v_and_b32_e32 v4, 0xff, v14
	v_mul_lo_u16 v4, 0xcd, v4
	v_add_co_u32 v21, s0, s8, v21
	v_add_co_ci_u32_e64 v22, s0, s9, v22, s0
	v_lshrrev_b16 v4, 11, v4
	global_load_dwordx4 v[74:77], v[21:22], off
	v_and_b32_e32 v22, 0xff, v12
	v_mul_lo_u16 v4, v4, 10
	v_sub_nc_u16 v4, v14, v4
	v_and_b32_e32 v21, 0xff, v4
	v_mul_lo_u16 v4, 0xcd, v22
	v_lshlrev_b32_e32 v22, 4, v21
	v_lshrrev_b16 v4, 11, v4
	global_load_dwordx4 v[78:81], v22, s[8:9]
	v_mul_lo_u16 v4, v4, 10
	v_sub_nc_u16 v4, v12, v4
	v_and_b32_e32 v4, 0xff, v4
	v_lshlrev_b32_e32 v22, 4, v4
	v_lshl_add_u32 v4, v4, 1, v13
	global_load_dwordx4 v[82:85], v22, s[8:9]
	ds_read_u16 v27, v9 offset:60
	ds_read_u16 v29, v9 offset:240
	;; [unrolled: 1-line block ×3, first 2 shown]
	ds_read_u16 v32, v1
	ds_read_u16 v33, v9 offset:120
	ds_read_u16 v34, v9 offset:130
	;; [unrolled: 1-line block ×19, first 2 shown]
	s_waitcnt vmcnt(3) lgkmcnt(22)
	v_mul_f16_sdwa v88, v27, v58 dst_sel:DWORD dst_unused:UNUSED_PAD src0_sel:DWORD src1_sel:WORD_1
	v_mul_f16_sdwa v67, v55, v58 dst_sel:DWORD dst_unused:UNUSED_PAD src0_sel:DWORD src1_sel:WORD_1
	s_waitcnt lgkmcnt(18)
	v_mul_f16_sdwa v92, v33, v59 dst_sel:DWORD dst_unused:UNUSED_PAD src0_sel:DWORD src1_sel:WORD_1
	s_waitcnt lgkmcnt(13)
	v_mul_f16_sdwa v94, v46, v60 dst_sel:DWORD dst_unused:UNUSED_PAD src0_sel:DWORD src1_sel:WORD_1
	v_mul_f16_sdwa v95, v29, v61 dst_sel:DWORD dst_unused:UNUSED_PAD src0_sel:DWORD src1_sel:WORD_1
	v_fmac_f16_e32 v88, v55, v58
	v_mul_f16_sdwa v55, v63, v59 dst_sel:DWORD dst_unused:UNUSED_PAD src0_sel:DWORD src1_sel:WORD_1
	v_fma_f16 v93, v27, v58, -v67
	v_mul_f16_sdwa v27, v64, v60 dst_sel:DWORD dst_unused:UNUSED_PAD src0_sel:DWORD src1_sel:WORD_1
	v_fmac_f16_e32 v92, v63, v59
	v_fmac_f16_e32 v94, v64, v60
	v_fma_f16 v63, v33, v59, -v55
	v_mul_f16_sdwa v33, v56, v61 dst_sel:DWORD dst_unused:UNUSED_PAD src0_sel:DWORD src1_sel:WORD_1
	v_fma_f16 v46, v46, v60, -v27
	v_mul_f16_sdwa v27, v57, v58 dst_sel:DWORD dst_unused:UNUSED_PAD src0_sel:DWORD src1_sel:WORD_1
	v_mul_f16_sdwa v64, v32, v58 dst_sel:DWORD dst_unused:UNUSED_PAD src0_sel:DWORD src1_sel:WORD_1
	s_waitcnt lgkmcnt(11)
	v_mul_f16_sdwa v99, v50, v60 dst_sel:DWORD dst_unused:UNUSED_PAD src0_sel:DWORD src1_sel:WORD_1
	v_fma_f16 v96, v29, v61, -v33
	v_mul_f16_sdwa v29, v53, v59 dst_sel:DWORD dst_unused:UNUSED_PAD src0_sel:DWORD src1_sel:WORD_1
	v_fma_f16 v98, v32, v58, -v27
	ds_read_u16 v32, v9 offset:90
	v_mul_f16_sdwa v27, v51, v60 dst_sel:DWORD dst_unused:UNUSED_PAD src0_sel:DWORD src1_sel:WORD_1
	v_fmac_f16_e32 v99, v51, v60
	v_fma_f16 v100, v40, v59, -v29
	v_mul_f16_sdwa v29, v54, v61 dst_sel:DWORD dst_unused:UNUSED_PAD src0_sel:DWORD src1_sel:WORD_1
	s_waitcnt lgkmcnt(8)
	v_mul_f16_sdwa v101, v66, v61 dst_sel:DWORD dst_unused:UNUSED_PAD src0_sel:DWORD src1_sel:WORD_1
	v_fma_f16 v102, v50, v60, -v27
	s_waitcnt vmcnt(2)
	v_mul_f16_sdwa v60, v30, v74 dst_sel:DWORD dst_unused:UNUSED_PAD src0_sel:DWORD src1_sel:WORD_1
	v_mul_f16_sdwa v27, v26, v74 dst_sel:DWORD dst_unused:UNUSED_PAD src0_sel:DWORD src1_sel:WORD_1
	v_fma_f16 v103, v66, v61, -v29
	v_mul_f16_sdwa v29, v47, v75 dst_sel:DWORD dst_unused:UNUSED_PAD src0_sel:DWORD src1_sel:WORD_1
	v_fmac_f16_e32 v95, v56, v61
	v_fmac_f16_e32 v60, v26, v74
	v_mul_f16_sdwa v26, v48, v76 dst_sel:DWORD dst_unused:UNUSED_PAD src0_sel:DWORD src1_sel:WORD_1
	v_fmac_f16_e32 v101, v54, v61
	v_fma_f16 v105, v34, v75, -v29
	ds_read_u16 v29, v9 offset:100
	v_mul_f16_sdwa v61, v34, v75 dst_sel:DWORD dst_unused:UNUSED_PAD src0_sel:DWORD src1_sel:WORD_1
	v_mul_f16_sdwa v66, v49, v76 dst_sel:DWORD dst_unused:UNUSED_PAD src0_sel:DWORD src1_sel:WORD_1
	v_fma_f16 v104, v30, v74, -v27
	s_waitcnt lgkmcnt(1)
	v_mul_f16_sdwa v72, v32, v74 dst_sel:DWORD dst_unused:UNUSED_PAD src0_sel:DWORD src1_sel:WORD_1
	v_fma_f16 v49, v49, v76, -v26
	v_mul_f16_sdwa v26, v23, v74 dst_sel:DWORD dst_unused:UNUSED_PAD src0_sel:DWORD src1_sel:WORD_1
	v_mul_f16_sdwa v70, v41, v75 dst_sel:DWORD dst_unused:UNUSED_PAD src0_sel:DWORD src1_sel:WORD_1
	;; [unrolled: 1-line block ×3, first 2 shown]
	v_fmac_f16_e32 v72, v23, v74
	v_mul_f16_sdwa v23, v24, v75 dst_sel:DWORD dst_unused:UNUSED_PAD src0_sel:DWORD src1_sel:WORD_1
	v_fmac_f16_e32 v61, v47, v75
	v_mul_f16_sdwa v27, v45, v77 dst_sel:DWORD dst_unused:UNUSED_PAD src0_sel:DWORD src1_sel:WORD_1
	;; [unrolled: 2-line block ×3, first 2 shown]
	v_fma_f16 v69, v41, v75, -v23
	v_mul_f16_sdwa v75, v71, v77 dst_sel:DWORD dst_unused:UNUSED_PAD src0_sel:DWORD src1_sel:WORD_1
	v_fma_f16 v71, v71, v77, -v30
	s_waitcnt vmcnt(1)
	v_mul_f16_sdwa v30, v38, v78 dst_sel:DWORD dst_unused:UNUSED_PAD src0_sel:DWORD src1_sel:WORD_1
	v_fmac_f16_e32 v64, v57, v58
	v_mul_f16_sdwa v106, v65, v77 dst_sel:DWORD dst_unused:UNUSED_PAD src0_sel:DWORD src1_sel:WORD_1
	v_fma_f16 v65, v65, v77, -v27
	v_mul_f16_sdwa v27, v25, v76 dst_sel:DWORD dst_unused:UNUSED_PAD src0_sel:DWORD src1_sel:WORD_1
	v_fma_f16 v67, v32, v74, -v26
	s_waitcnt lgkmcnt(0)
	v_mul_f16_sdwa v54, v29, v78 dst_sel:DWORD dst_unused:UNUSED_PAD src0_sel:DWORD src1_sel:WORD_1
	v_mul_f16_sdwa v32, v35, v79 dst_sel:DWORD dst_unused:UNUSED_PAD src0_sel:DWORD src1_sel:WORD_1
	;; [unrolled: 1-line block ×3, first 2 shown]
	v_fma_f16 v51, v29, v78, -v30
	v_mul_f16_sdwa v29, v39, v80 dst_sel:DWORD dst_unused:UNUSED_PAD src0_sel:DWORD src1_sel:WORD_1
	v_fmac_f16_e32 v97, v53, v59
	v_mul_f16_sdwa v73, v52, v76 dst_sel:DWORD dst_unused:UNUSED_PAD src0_sel:DWORD src1_sel:WORD_1
	v_fma_f16 v68, v52, v76, -v27
	v_mul_f16_sdwa v56, v42, v79 dst_sel:DWORD dst_unused:UNUSED_PAD src0_sel:DWORD src1_sel:WORD_1
	v_fma_f16 v53, v42, v79, -v32
	v_fmac_f16_e32 v57, v39, v80
	v_fma_f16 v52, v62, v80, -v29
	v_mul_f16_sdwa v29, v36, v81 dst_sel:DWORD dst_unused:UNUSED_PAD src0_sel:DWORD src1_sel:WORD_1
	s_waitcnt vmcnt(0)
	v_mul_f16_sdwa v42, v91, v82 dst_sel:DWORD dst_unused:UNUSED_PAD src0_sel:DWORD src1_sel:WORD_1
	v_mul_f16_sdwa v30, v37, v82 dst_sel:DWORD dst_unused:UNUSED_PAD src0_sel:DWORD src1_sel:WORD_1
	;; [unrolled: 1-line block ×4, first 2 shown]
	v_fma_f16 v55, v86, v81, -v29
	v_fmac_f16_e32 v42, v37, v82
	v_fma_f16 v37, v91, v82, -v30
	v_mul_f16_sdwa v29, v43, v83 dst_sel:DWORD dst_unused:UNUSED_PAD src0_sel:DWORD src1_sel:WORD_1
	v_fmac_f16_e32 v39, v43, v83
	v_mul_f16_sdwa v30, v28, v84 dst_sel:DWORD dst_unused:UNUSED_PAD src0_sel:DWORD src1_sel:WORD_1
	v_mul_f16_sdwa v43, v90, v85 dst_sel:DWORD dst_unused:UNUSED_PAD src0_sel:DWORD src1_sel:WORD_1
	v_fmac_f16_e32 v41, v28, v84
	v_mul_f16_sdwa v28, v31, v85 dst_sel:DWORD dst_unused:UNUSED_PAD src0_sel:DWORD src1_sel:WORD_1
	v_fmac_f16_e32 v54, v38, v78
	v_fmac_f16_e32 v56, v35, v79
	v_fma_f16 v38, v89, v83, -v29
	v_add_f16_e32 v29, v92, v94
	v_fma_f16 v34, v87, v84, -v30
	v_fmac_f16_e32 v43, v31, v85
	v_sub_f16_e32 v30, v88, v92
	v_sub_f16_e32 v31, v95, v94
	v_fma_f16 v35, v90, v85, -v28
	v_add_f16_e32 v28, v88, v95
	v_fmac_f16_e32 v73, v25, v76
	ds_read_u16 v27, v10
	ds_read_u16 v26, v9 offset:10
	ds_read_u16 v25, v9 offset:20
	;; [unrolled: 1-line block ×4, first 2 shown]
	v_mul_f16_sdwa v59, v86, v81 dst_sel:DWORD dst_unused:UNUSED_PAD src0_sel:DWORD src1_sel:WORD_1
	v_fma_f16 v32, -0.5, v29, v20
	v_sub_f16_e32 v40, v63, v46
	v_add_f16_e32 v30, v30, v31
	v_add_f16_e32 v31, v20, v88
	v_fmac_f16_e32 v20, -0.5, v28
	v_fmac_f16_e32 v75, v44, v77
	v_fmac_f16_e32 v59, v36, v81
	v_sub_f16_e32 v29, v93, v96
	v_sub_f16_e32 v28, v92, v88
	;; [unrolled: 1-line block ×3, first 2 shown]
	v_fmamk_f16 v36, v40, 0x3b9c, v20
	v_fmac_f16_e32 v20, 0xbb9c, v40
	v_add_f16_e32 v31, v31, v92
	v_fmamk_f16 v33, v29, 0xbb9c, v32
	v_fmac_f16_e32 v32, 0x3b9c, v29
	v_add_f16_e32 v28, v28, v44
	v_fmac_f16_e32 v36, 0xb8b4, v29
	v_fmac_f16_e32 v20, 0x38b4, v29
	v_add_f16_e32 v29, v31, v94
	v_fmac_f16_e32 v66, v48, v76
	v_fmac_f16_e32 v33, 0xb8b4, v40
	;; [unrolled: 1-line block ×5, first 2 shown]
	v_add_f16_e32 v40, v29, v95
	s_waitcnt lgkmcnt(4)
	v_add_f16_e32 v28, v27, v93
	v_add_f16_e32 v29, v63, v46
	v_add_f16_e32 v48, v93, v96
	v_fmac_f16_e32 v106, v45, v77
	v_fmac_f16_e32 v33, 0x34f2, v30
	;; [unrolled: 1-line block ×3, first 2 shown]
	v_sub_f16_e32 v45, v88, v95
	v_sub_f16_e32 v30, v93, v63
	;; [unrolled: 1-line block ×3, first 2 shown]
	v_add_f16_e32 v44, v28, v63
	v_fma_f16 v28, -0.5, v29, v27
	v_sub_f16_e32 v47, v92, v94
	v_fmac_f16_e32 v27, -0.5, v48
	v_add_f16_e32 v50, v30, v31
	v_add_f16_e32 v30, v44, v46
	v_fmamk_f16 v29, v45, 0x3b9c, v28
	v_fmac_f16_e32 v28, 0xbb9c, v45
	v_fmamk_f16 v31, v47, 0xbb9c, v27
	v_fmac_f16_e32 v27, 0x3b9c, v47
	v_sub_f16_e32 v44, v63, v93
	v_fmac_f16_e32 v29, 0x38b4, v47
	v_fmac_f16_e32 v28, 0xb8b4, v47
	v_sub_f16_e32 v46, v46, v96
	v_add_f16_e32 v47, v61, v66
	v_fmac_f16_e32 v31, 0x38b4, v45
	v_fmac_f16_e32 v27, 0xb8b4, v45
	v_add_f16_e32 v45, v60, v106
	v_fmac_f16_e32 v29, 0x34f2, v50
	v_fmac_f16_e32 v28, 0x34f2, v50
	v_add_f16_e32 v46, v44, v46
	v_sub_f16_e32 v48, v60, v61
	v_sub_f16_e32 v50, v106, v66
	v_fma_f16 v44, -0.5, v47, v19
	v_add_f16_e32 v62, v19, v60
	v_sub_f16_e32 v63, v105, v49
	v_fmac_f16_e32 v19, -0.5, v45
	v_sub_f16_e32 v58, v104, v65
	v_add_f16_e32 v48, v48, v50
	v_sub_f16_e32 v45, v61, v60
	v_sub_f16_e32 v74, v66, v106
	v_fmamk_f16 v50, v63, 0x3b9c, v19
	v_fmac_f16_e32 v19, 0xbb9c, v63
	v_add_f16_e32 v62, v62, v61
	v_fmamk_f16 v47, v58, 0xbb9c, v44
	v_fmac_f16_e32 v44, 0x3b9c, v58
	v_add_f16_e32 v45, v45, v74
	v_fmac_f16_e32 v50, 0xb8b4, v58
	v_fmac_f16_e32 v19, 0x38b4, v58
	;; [unrolled: 1-line block ×4, first 2 shown]
	v_add_f16_e32 v46, v62, v66
	v_fmac_f16_e32 v47, 0xb8b4, v63
	v_fmac_f16_e32 v44, 0x38b4, v63
	v_fmac_f16_e32 v50, 0x34f2, v45
	v_fmac_f16_e32 v19, 0x34f2, v45
	v_add_f16_e32 v58, v46, v106
	s_waitcnt lgkmcnt(3)
	v_add_f16_e32 v45, v26, v104
	v_add_f16_e32 v46, v105, v49
	v_fmac_f16_e32 v47, 0x34f2, v48
	v_fmac_f16_e32 v44, 0x34f2, v48
	v_sub_f16_e32 v62, v60, v106
	v_sub_f16_e32 v48, v104, v105
	;; [unrolled: 1-line block ×3, first 2 shown]
	v_add_f16_e32 v63, v45, v105
	v_fma_f16 v45, -0.5, v46, v26
	v_sub_f16_e32 v61, v61, v66
	v_add_f16_e32 v66, v104, v65
	v_add_f16_e32 v60, v48, v60
	;; [unrolled: 1-line block ×3, first 2 shown]
	v_fmamk_f16 v46, v62, 0x3b9c, v45
	v_fmac_f16_e32 v45, 0xbb9c, v62
	v_fmac_f16_e32 v26, -0.5, v66
	v_sub_f16_e32 v63, v105, v104
	v_add_f16_e32 v48, v48, v65
	v_fmac_f16_e32 v46, 0x38b4, v61
	v_fmac_f16_e32 v45, 0xb8b4, v61
	v_sub_f16_e32 v65, v49, v65
	v_fmamk_f16 v49, v61, 0xbb9c, v26
	v_fmac_f16_e32 v26, 0x3b9c, v61
	v_fmac_f16_e32 v46, 0x34f2, v60
	v_fmac_f16_e32 v45, 0x34f2, v60
	v_add_f16_e32 v60, v97, v99
	v_add_f16_e32 v61, v63, v65
	v_sub_f16_e32 v63, v64, v97
	v_sub_f16_e32 v65, v101, v99
	;; [unrolled: 1-line block ×3, first 2 shown]
	v_fma_f16 v60, -0.5, v60, v18
	v_add_f16_e32 v66, v64, v101
	v_fmac_f16_e32 v49, 0x38b4, v62
	v_add_f16_e32 v63, v63, v65
	v_add_f16_e32 v65, v18, v64
	v_fmac_f16_e32 v26, 0xb8b4, v62
	v_fmamk_f16 v62, v74, 0xbb9c, v60
	v_sub_f16_e32 v76, v100, v102
	v_fmac_f16_e32 v18, -0.5, v66
	v_fmac_f16_e32 v60, 0x3b9c, v74
	v_add_f16_e32 v65, v65, v97
	v_sub_f16_e32 v77, v97, v64
	v_sub_f16_e32 v78, v99, v101
	v_fmac_f16_e32 v62, 0xb8b4, v76
	v_fmamk_f16 v66, v76, 0x3b9c, v18
	v_fmac_f16_e32 v18, 0xbb9c, v76
	v_fmac_f16_e32 v60, 0x38b4, v76
	;; [unrolled: 1-line block ×4, first 2 shown]
	v_add_f16_e32 v61, v65, v99
	v_add_f16_e32 v76, v77, v78
	v_fmac_f16_e32 v66, 0xb8b4, v74
	v_fmac_f16_e32 v18, 0x38b4, v74
	;; [unrolled: 1-line block ×4, first 2 shown]
	v_add_f16_e32 v74, v61, v101
	s_waitcnt lgkmcnt(2)
	v_add_f16_e32 v61, v25, v98
	v_add_f16_e32 v63, v100, v102
	v_fmac_f16_e32 v66, 0x34f2, v76
	v_fmac_f16_e32 v18, 0x34f2, v76
	v_sub_f16_e32 v76, v64, v101
	v_add_f16_e32 v77, v61, v100
	v_fma_f16 v61, -0.5, v63, v25
	v_add_f16_e32 v79, v98, v103
	v_sub_f16_e32 v64, v98, v100
	v_sub_f16_e32 v65, v103, v102
	;; [unrolled: 1-line block ×3, first 2 shown]
	v_fmamk_f16 v63, v76, 0x3b9c, v61
	v_fmac_f16_e32 v61, 0xbb9c, v76
	v_fmac_f16_e32 v25, -0.5, v79
	v_add_f16_e32 v80, v64, v65
	v_add_f16_e32 v64, v77, v102
	v_sub_f16_e32 v77, v100, v98
	v_fmac_f16_e32 v63, 0x38b4, v78
	v_fmac_f16_e32 v61, 0xb8b4, v78
	v_sub_f16_e32 v79, v102, v103
	v_fmamk_f16 v65, v78, 0xbb9c, v25
	v_fmac_f16_e32 v25, 0x3b9c, v78
	v_fmac_f16_e32 v63, 0x34f2, v80
	;; [unrolled: 1-line block ×3, first 2 shown]
	v_add_f16_e32 v78, v70, v73
	v_add_f16_e32 v77, v77, v79
	v_fmac_f16_e32 v65, 0x38b4, v76
	v_sub_f16_e32 v79, v72, v70
	v_sub_f16_e32 v80, v75, v73
	v_fmac_f16_e32 v25, 0xb8b4, v76
	v_add_f16_e32 v76, v72, v75
	v_fma_f16 v78, -0.5, v78, v17
	v_sub_f16_e32 v81, v67, v71
	v_add_f16_e32 v79, v79, v80
	v_add_f16_e32 v80, v17, v72
	v_sub_f16_e32 v83, v69, v68
	v_fmac_f16_e32 v17, -0.5, v76
	v_fmamk_f16 v82, v81, 0xbb9c, v78
	v_fmac_f16_e32 v78, 0x3b9c, v81
	v_sub_f16_e32 v76, v70, v72
	v_sub_f16_e32 v84, v73, v75
	v_fmamk_f16 v85, v83, 0x3b9c, v17
	v_fmac_f16_e32 v17, 0xbb9c, v83
	v_add_f16_e32 v80, v80, v70
	v_fmac_f16_e32 v82, 0xb8b4, v83
	v_fmac_f16_e32 v78, 0x38b4, v83
	v_add_f16_e32 v76, v76, v84
	v_fmac_f16_e32 v85, 0xb8b4, v81
	v_fmac_f16_e32 v17, 0x38b4, v81
	;; [unrolled: 1-line block ×4, first 2 shown]
	v_add_f16_e32 v77, v80, v73
	v_fmac_f16_e32 v82, 0x34f2, v79
	v_fmac_f16_e32 v78, 0x34f2, v79
	;; [unrolled: 1-line block ×4, first 2 shown]
	v_add_f16_e32 v76, v77, v75
	s_waitcnt lgkmcnt(1)
	v_add_f16_e32 v77, v24, v67
	v_add_f16_e32 v79, v69, v68
	v_sub_f16_e32 v72, v72, v75
	v_sub_f16_e32 v75, v67, v69
	v_sub_f16_e32 v80, v71, v68
	v_add_f16_e32 v77, v77, v69
	v_fma_f16 v79, -0.5, v79, v24
	v_sub_f16_e32 v70, v70, v73
	v_add_f16_e32 v73, v67, v71
	v_add_f16_e32 v75, v75, v80
	;; [unrolled: 1-line block ×3, first 2 shown]
	v_fmamk_f16 v80, v72, 0x3b9c, v79
	v_fmac_f16_e32 v79, 0xbb9c, v72
	v_fmac_f16_e32 v24, -0.5, v73
	v_sub_f16_e32 v67, v69, v67
	v_add_f16_e32 v69, v77, v71
	v_fmac_f16_e32 v80, 0x38b4, v70
	v_fmac_f16_e32 v79, 0xb8b4, v70
	v_sub_f16_e32 v68, v68, v71
	v_fmamk_f16 v71, v70, 0xbb9c, v24
	v_fmac_f16_e32 v24, 0x3b9c, v70
	v_add_f16_e32 v70, v56, v57
	v_fmac_f16_e32 v80, 0x34f2, v75
	v_fmac_f16_e32 v79, 0x34f2, v75
	v_add_f16_e32 v67, v67, v68
	v_fmac_f16_e32 v71, 0x38b4, v72
	v_sub_f16_e32 v68, v54, v56
	v_sub_f16_e32 v73, v59, v57
	v_fma_f16 v70, -0.5, v70, v16
	v_sub_f16_e32 v75, v51, v55
	v_fmac_f16_e32 v24, 0xb8b4, v72
	v_add_f16_e32 v72, v54, v59
	v_add_f16_e32 v68, v68, v73
	;; [unrolled: 1-line block ×3, first 2 shown]
	v_fmamk_f16 v77, v75, 0xbb9c, v70
	v_sub_f16_e32 v81, v53, v52
	v_fmac_f16_e32 v16, -0.5, v72
	v_fmac_f16_e32 v70, 0x3b9c, v75
	v_sub_f16_e32 v72, v56, v54
	v_sub_f16_e32 v83, v57, v59
	v_fmac_f16_e32 v77, 0xb8b4, v81
	v_fmamk_f16 v84, v81, 0x3b9c, v16
	v_fmac_f16_e32 v16, 0xbb9c, v81
	v_fmac_f16_e32 v70, 0x38b4, v81
	v_add_f16_e32 v72, v72, v83
	v_add_f16_e32 v73, v73, v56
	v_fmac_f16_e32 v84, 0xb8b4, v75
	v_fmac_f16_e32 v16, 0x38b4, v75
	;; [unrolled: 1-line block ×4, first 2 shown]
	s_waitcnt lgkmcnt(0)
	v_add_f16_e32 v68, v23, v51
	v_fmac_f16_e32 v71, 0x34f2, v67
	v_fmac_f16_e32 v24, 0x34f2, v67
	v_add_f16_e32 v67, v73, v57
	v_fmac_f16_e32 v84, 0x34f2, v72
	v_fmac_f16_e32 v16, 0x34f2, v72
	v_add_f16_e32 v72, v53, v52
	v_add_f16_e32 v68, v68, v53
	v_sub_f16_e32 v56, v56, v57
	v_add_f16_e32 v57, v51, v55
	v_add_f16_e32 v67, v67, v59
	v_sub_f16_e32 v54, v54, v59
	v_sub_f16_e32 v59, v51, v53
	;; [unrolled: 1-line block ×3, first 2 shown]
	v_fma_f16 v72, -0.5, v72, v23
	v_add_f16_e32 v68, v68, v52
	v_fmac_f16_e32 v23, -0.5, v57
	v_sub_f16_e32 v51, v53, v51
	v_sub_f16_e32 v52, v52, v55
	v_add_f16_e32 v59, v59, v73
	v_fmamk_f16 v73, v54, 0x3b9c, v72
	v_fmac_f16_e32 v72, 0xbb9c, v54
	v_add_f16_e32 v57, v68, v55
	v_fmamk_f16 v68, v56, 0xbb9c, v23
	v_fmac_f16_e32 v23, 0x3b9c, v56
	v_add_f16_e32 v51, v51, v52
	v_add_f16_e32 v52, v39, v41
	v_fmac_f16_e32 v73, 0x38b4, v56
	v_fmac_f16_e32 v72, 0xb8b4, v56
	;; [unrolled: 1-line block ×3, first 2 shown]
	v_sub_f16_e32 v53, v42, v39
	v_sub_f16_e32 v55, v43, v41
	v_fmac_f16_e32 v23, 0xb8b4, v54
	v_add_f16_e32 v54, v42, v43
	v_fma_f16 v52, -0.5, v52, v15
	v_sub_f16_e32 v56, v37, v35
	v_fmac_f16_e32 v73, 0x34f2, v59
	v_fmac_f16_e32 v72, 0x34f2, v59
	v_add_f16_e32 v53, v53, v55
	v_add_f16_e32 v55, v15, v42
	v_fmac_f16_e32 v15, -0.5, v54
	v_sub_f16_e32 v54, v38, v34
	v_fmamk_f16 v59, v56, 0xbb9c, v52
	v_fmac_f16_e32 v52, 0x3b9c, v56
	v_sub_f16_e32 v75, v39, v42
	v_sub_f16_e32 v81, v41, v43
	v_fmamk_f16 v83, v54, 0x3b9c, v15
	v_fmac_f16_e32 v59, 0xb8b4, v54
	v_fmac_f16_e32 v52, 0x38b4, v54
	;; [unrolled: 1-line block ×3, first 2 shown]
	v_add_f16_e32 v55, v55, v39
	v_add_f16_e32 v54, v75, v81
	v_fmac_f16_e32 v59, 0x34f2, v53
	v_fmac_f16_e32 v52, 0x34f2, v53
	v_add_f16_e32 v53, v38, v34
	v_fmac_f16_e32 v83, 0xb8b4, v56
	v_fmac_f16_e32 v15, 0x38b4, v56
	;; [unrolled: 1-line block ×4, first 2 shown]
	v_add_f16_e32 v51, v55, v41
	v_fma_f16 v75, -0.5, v53, v22
	v_add_f16_e32 v53, v37, v35
	v_fmac_f16_e32 v83, 0x34f2, v54
	v_fmac_f16_e32 v15, 0x34f2, v54
	v_add_f16_e32 v51, v51, v43
	v_sub_f16_e32 v42, v42, v43
	v_sub_f16_e32 v43, v37, v38
	;; [unrolled: 1-line block ×3, first 2 shown]
	v_add_f16_e32 v55, v22, v37
	v_sub_f16_e32 v39, v39, v41
	v_fmac_f16_e32 v22, -0.5, v53
	v_fmamk_f16 v81, v42, 0x3b9c, v75
	v_add_f16_e32 v41, v43, v54
	v_add_f16_e32 v43, v55, v38
	v_sub_f16_e32 v37, v38, v37
	v_fmac_f16_e32 v75, 0xbb9c, v42
	v_sub_f16_e32 v38, v34, v35
	v_fmamk_f16 v86, v39, 0xbb9c, v22
	v_fmac_f16_e32 v22, 0x3b9c, v39
	s_barrier
	buffer_gl0_inv
	ds_write_b16 v9, v40
	ds_write_b16 v9, v33 offset:20
	ds_write_b16 v9, v36 offset:40
	;; [unrolled: 1-line block ×8, first 2 shown]
	v_lshl_add_u32 v58, v8, 1, v13
	v_fmac_f16_e32 v81, 0x38b4, v39
	v_add_f16_e32 v34, v43, v34
	v_fmac_f16_e32 v75, 0xb8b4, v39
	v_add_f16_e32 v37, v37, v38
	v_fmac_f16_e32 v86, 0x38b4, v42
	v_fmac_f16_e32 v22, 0xb8b4, v42
	ds_write_b16 v9, v44 offset:90
	ds_write_b16 v9, v74 offset:100
	;; [unrolled: 1-line block ×4, first 2 shown]
	ds_write_b16 v58, v18
	ds_write_b16 v9, v60 offset:180
	ds_write_b16 v9, v76 offset:110
	v_lshl_add_u32 v60, v21, 1, v13
	v_add_f16_e32 v87, v34, v35
	v_fmac_f16_e32 v81, 0x34f2, v41
	v_fmac_f16_e32 v75, 0x34f2, v41
	;; [unrolled: 1-line block ×4, first 2 shown]
	ds_write_b16 v9, v82 offset:130
	ds_write_b16 v9, v85 offset:150
	;; [unrolled: 1-line block ×14, first 2 shown]
	s_waitcnt lgkmcnt(0)
	s_barrier
	buffer_gl0_inv
	ds_read_u16 v8, v10
	ds_read_u16 v13, v9 offset:10
	ds_read_u16 v15, v9 offset:20
	;; [unrolled: 1-line block ×27, first 2 shown]
	ds_read_u16 v50, v1
	ds_read_u16 v56, v9 offset:290
	v_add_f16_e32 v30, v30, v96
	v_add_f16_e32 v64, v64, v103
	s_waitcnt lgkmcnt(0)
	s_barrier
	buffer_gl0_inv
	ds_write_b16 v9, v30
	ds_write_b16 v9, v29 offset:20
	ds_write_b16 v9, v31 offset:40
	;; [unrolled: 1-line block ×12, first 2 shown]
	ds_write_b16 v58, v25
	ds_write_b16 v9, v61 offset:180
	ds_write_b16 v9, v69 offset:110
	;; [unrolled: 1-line block ×16, first 2 shown]
	s_waitcnt lgkmcnt(0)
	s_barrier
	buffer_gl0_inv
	s_and_saveexec_b32 s0, vcc_lo
	s_cbranch_execz .LBB0_14
; %bb.13:
	v_add_nc_u32_e32 v61, 45, v0
	v_add_nc_u32_e32 v62, 30, v0
	v_lshlrev_b32_e32 v4, 1, v61
	v_lshlrev_b64 v[22:23], 2, v[4:5]
	v_lshlrev_b32_e32 v4, 1, v7
	v_mov_b32_e32 v7, v5
	v_lshlrev_b64 v[24:25], 2, v[4:5]
	v_add_nc_u32_e32 v4, 0x46, v6
	v_add_co_u32 v22, vcc_lo, s8, v22
	v_add_co_ci_u32_e32 v23, vcc_lo, s9, v23, vcc_lo
	v_lshlrev_b64 v[26:27], 2, v[4:5]
	v_lshlrev_b32_e32 v4, 1, v62
	v_add_co_u32 v24, vcc_lo, s8, v24
	global_load_dwordx2 v[22:23], v[22:23], off offset:160
	v_add_co_ci_u32_e32 v25, vcc_lo, s9, v25, vcc_lo
	v_lshlrev_b64 v[28:29], 2, v[4:5]
	v_lshlrev_b32_e32 v4, 1, v12
	v_add_co_u32 v26, vcc_lo, s8, v26
	global_load_dwordx2 v[24:25], v[24:25], off offset:160
	;; [unrolled: 5-line block ×3, first 2 shown]
	v_add_co_ci_u32_e32 v29, vcc_lo, s9, v29, vcc_lo
	v_lshlrev_b64 v[45:46], 2, v[4:5]
	v_add_nc_u32_e32 v4, 30, v6
	v_add_co_u32 v30, vcc_lo, s8, v30
	global_load_dwordx2 v[28:29], v[28:29], off offset:160
	v_add_co_ci_u32_e32 v31, vcc_lo, s9, v31, vcc_lo
	v_lshlrev_b64 v[48:49], 2, v[4:5]
	v_add_nc_u32_e32 v4, 20, v6
	v_add_co_u32 v45, vcc_lo, s8, v45
	global_load_dwordx2 v[30:31], v[30:31], off offset:160
	v_add_co_ci_u32_e32 v46, vcc_lo, s9, v46, vcc_lo
	v_lshlrev_b64 v[57:58], 2, v[4:5]
	v_lshlrev_b32_e32 v4, 1, v11
	v_add_co_u32 v48, vcc_lo, s8, v48
	global_load_dwordx2 v[45:46], v[45:46], off offset:160
	v_add_co_ci_u32_e32 v49, vcc_lo, s9, v49, vcc_lo
	v_lshlrev_b64 v[59:60], 2, v[4:5]
	v_add_co_u32 v57, vcc_lo, s8, v57
	global_load_dwordx2 v[48:49], v[48:49], off offset:160
	v_lshlrev_b64 v[6:7], 2, v[6:7]
	v_add_co_ci_u32_e32 v58, vcc_lo, s9, v58, vcc_lo
	v_add_co_u32 v59, vcc_lo, s8, v59
	v_add_co_ci_u32_e32 v60, vcc_lo, s9, v60, vcc_lo
	global_load_dwordx2 v[57:58], v[57:58], off offset:160
	v_add_co_u32 v6, vcc_lo, s8, v6
	v_add_co_ci_u32_e32 v7, vcc_lo, s9, v7, vcc_lo
	s_clause 0x1
	global_load_dwordx2 v[59:60], v[59:60], off offset:160
	global_load_dwordx2 v[6:7], v[6:7], off offset:160
	v_mul_hi_u32 v4, 0x51eb851f, v12
	ds_read_u16 v14, v9 offset:90
	ds_read_u16 v63, v9 offset:30
	;; [unrolled: 1-line block ×14, first 2 shown]
	v_mul_hi_u32 v11, 0x51eb851f, v62
	ds_read_u16 v12, v1
	ds_read_u16 v76, v9 offset:290
	ds_read_u16 v77, v9 offset:280
	;; [unrolled: 1-line block ×5, first 2 shown]
	v_mov_b32_e32 v1, v5
	ds_read_u16 v62, v9 offset:20
	ds_read_u16 v81, v9 offset:10
	ds_read_u16 v82, v10
	v_mul_hi_u32 v10, 0x51eb851f, v61
	v_add_co_u32 v61, vcc_lo, s2, v2
	v_lshrrev_b32_e32 v4, 4, v4
	v_lshrrev_b32_e32 v11, 4, v11
	v_lshlrev_b64 v[0:1], 2, v[0:1]
	v_add_co_ci_u32_e32 v83, vcc_lo, s3, v3, vcc_lo
	v_mul_u32_u24_e32 v4, 0x64, v4
	v_lshrrev_b32_e32 v84, 4, v10
	ds_read_u16 v86, v9 offset:160
	ds_read_u16 v87, v9 offset:150
	;; [unrolled: 1-line block ×7, first 2 shown]
	v_add_co_u32 v0, vcc_lo, v61, v0
	v_lshlrev_b64 v[2:3], 2, v[4:5]
	v_mul_u32_u24_e32 v4, 0x64, v11
	v_add_co_ci_u32_e32 v1, vcc_lo, v83, v1, vcc_lo
	v_lshlrev_b64 v[10:11], 2, v[4:5]
	v_mul_u32_u24_e32 v4, 0x64, v84
	v_add_co_u32 v2, vcc_lo, v0, v2
	v_add_co_ci_u32_e32 v3, vcc_lo, v1, v3, vcc_lo
	v_lshlrev_b64 v[4:5], 2, v[4:5]
	v_add_co_u32 v10, vcc_lo, v0, v10
	v_add_co_ci_u32_e32 v11, vcc_lo, v1, v11, vcc_lo
	v_add_co_u32 v4, vcc_lo, v0, v4
	v_add_co_ci_u32_e32 v5, vcc_lo, v1, v5, vcc_lo
	s_waitcnt vmcnt(9)
	v_mul_f16_sdwa v61, v55, v22 dst_sel:DWORD dst_unused:UNUSED_PAD src0_sel:DWORD src1_sel:WORD_1
	v_mul_f16_sdwa v83, v56, v23 dst_sel:DWORD dst_unused:UNUSED_PAD src0_sel:DWORD src1_sel:WORD_1
	s_waitcnt lgkmcnt(18)
	v_mul_f16_sdwa v84, v73, v22 dst_sel:DWORD dst_unused:UNUSED_PAD src0_sel:DWORD src1_sel:WORD_1
	s_waitcnt lgkmcnt(14)
	v_mul_f16_sdwa v85, v76, v23 dst_sel:DWORD dst_unused:UNUSED_PAD src0_sel:DWORD src1_sel:WORD_1
	v_fma_f16 v61, v73, v22, -v61
	v_fma_f16 v73, v76, v23, -v83
	v_fmac_f16_e32 v84, v55, v22
	v_fmac_f16_e32 v85, v56, v23
	s_waitcnt vmcnt(8)
	v_mul_f16_sdwa v22, v53, v24 dst_sel:DWORD dst_unused:UNUSED_PAD src0_sel:DWORD src1_sel:WORD_1
	v_mul_f16_sdwa v23, v54, v25 dst_sel:DWORD dst_unused:UNUSED_PAD src0_sel:DWORD src1_sel:WORD_1
	;; [unrolled: 1-line block ×3, first 2 shown]
	s_waitcnt lgkmcnt(13)
	v_mul_f16_sdwa v56, v77, v25 dst_sel:DWORD dst_unused:UNUSED_PAD src0_sel:DWORD src1_sel:WORD_1
	v_add_f16_e32 v76, v61, v73
	v_sub_f16_e32 v83, v84, v85
	v_fma_f16 v22, v74, v24, -v22
	v_add_f16_e32 v74, v14, v61
	v_fma_f16 v23, v77, v25, -v23
	v_add_f16_e32 v77, v84, v85
	v_add_f16_e32 v84, v52, v84
	v_fmac_f16_e32 v55, v53, v24
	v_fmac_f16_e32 v56, v54, v25
	s_waitcnt vmcnt(7)
	v_mul_f16_sdwa v24, v47, v26 dst_sel:DWORD dst_unused:UNUSED_PAD src0_sel:DWORD src1_sel:WORD_1
	v_mul_f16_sdwa v25, v51, v27 dst_sel:DWORD dst_unused:UNUSED_PAD src0_sel:DWORD src1_sel:WORD_1
	;; [unrolled: 1-line block ×3, first 2 shown]
	s_waitcnt lgkmcnt(12)
	v_mul_f16_sdwa v54, v78, v27 dst_sel:DWORD dst_unused:UNUSED_PAD src0_sel:DWORD src1_sel:WORD_1
	v_sub_f16_e32 v61, v61, v73
	v_fma_f16 v14, -0.5, v76, v14
	v_add_f16_e32 v73, v74, v73
	v_fma_f16 v52, -0.5, v77, v52
	v_add_f16_e32 v74, v84, v85
	v_add_f16_e32 v76, v22, v23
	v_sub_f16_e32 v77, v55, v56
	v_add_f16_e32 v85, v55, v56
	v_add_f16_e32 v55, v50, v55
	v_fma_f16 v24, v75, v26, -v24
	v_fma_f16 v25, v78, v27, -v25
	v_fmac_f16_e32 v53, v47, v26
	v_fmac_f16_e32 v54, v51, v27
	s_waitcnt vmcnt(6)
	v_mul_f16_sdwa v26, v43, v28 dst_sel:DWORD dst_unused:UNUSED_PAD src0_sel:DWORD src1_sel:WORD_1
	v_mul_f16_sdwa v27, v44, v29 dst_sel:DWORD dst_unused:UNUSED_PAD src0_sel:DWORD src1_sel:WORD_1
	s_waitcnt lgkmcnt(6)
	v_mul_f16_sdwa v47, v86, v28 dst_sel:DWORD dst_unused:UNUSED_PAD src0_sel:DWORD src1_sel:WORD_1
	v_mul_f16_sdwa v51, v79, v29 dst_sel:DWORD dst_unused:UNUSED_PAD src0_sel:DWORD src1_sel:WORD_1
	v_add_f16_e32 v84, v12, v22
	v_sub_f16_e32 v22, v22, v23
	v_fmamk_f16 v75, v83, 0xbaee, v14
	v_fmac_f16_e32 v14, 0x3aee, v83
	v_fmamk_f16 v78, v61, 0x3aee, v52
	v_fmac_f16_e32 v52, 0xbaee, v61
	v_fma_f16 v12, -0.5, v76, v12
	v_fma_f16 v50, -0.5, v85, v50
	v_add_f16_e32 v55, v55, v56
	v_add_f16_e32 v56, v24, v25
	v_sub_f16_e32 v61, v53, v54
	v_add_f16_e32 v76, v67, v24
	v_add_f16_e32 v83, v53, v54
	;; [unrolled: 1-line block ×3, first 2 shown]
	v_fma_f16 v26, v86, v28, -v26
	v_fma_f16 v27, v79, v29, -v27
	v_fmac_f16_e32 v47, v43, v28
	v_fmac_f16_e32 v51, v44, v29
	s_waitcnt vmcnt(5)
	v_mul_f16_sdwa v28, v41, v30 dst_sel:DWORD dst_unused:UNUSED_PAD src0_sel:DWORD src1_sel:WORD_1
	v_mul_f16_sdwa v29, v42, v31 dst_sel:DWORD dst_unused:UNUSED_PAD src0_sel:DWORD src1_sel:WORD_1
	s_waitcnt lgkmcnt(5)
	v_mul_f16_sdwa v43, v87, v30 dst_sel:DWORD dst_unused:UNUSED_PAD src0_sel:DWORD src1_sel:WORD_1
	v_mul_f16_sdwa v44, v80, v31 dst_sel:DWORD dst_unused:UNUSED_PAD src0_sel:DWORD src1_sel:WORD_1
	v_add_f16_e32 v23, v84, v23
	v_sub_f16_e32 v24, v24, v25
	v_pack_b32_f16 v73, v74, v73
	v_fmamk_f16 v74, v77, 0xbaee, v12
	v_fmac_f16_e32 v12, 0x3aee, v77
	v_fmamk_f16 v77, v22, 0x3aee, v50
	v_fmac_f16_e32 v50, 0xbaee, v22
	v_fma_f16 v22, -0.5, v56, v67
	v_add_f16_e32 v25, v76, v25
	v_fma_f16 v40, -0.5, v83, v40
	v_add_f16_e32 v53, v53, v54
	v_add_f16_e32 v54, v26, v27
	v_sub_f16_e32 v56, v47, v51
	v_add_f16_e32 v67, v66, v26
	v_add_f16_e32 v76, v47, v51
	v_add_f16_e32 v47, v38, v47
	v_fma_f16 v28, v87, v30, -v28
	v_fma_f16 v29, v80, v31, -v29
	v_fmac_f16_e32 v43, v41, v30
	v_fmac_f16_e32 v44, v42, v31
	s_waitcnt vmcnt(4)
	v_mul_f16_sdwa v30, v39, v45 dst_sel:DWORD dst_unused:UNUSED_PAD src0_sel:DWORD src1_sel:WORD_1
	v_mul_f16_sdwa v31, v37, v46 dst_sel:DWORD dst_unused:UNUSED_PAD src0_sel:DWORD src1_sel:WORD_1
	s_waitcnt lgkmcnt(4)
	v_mul_f16_sdwa v41, v88, v45 dst_sel:DWORD dst_unused:UNUSED_PAD src0_sel:DWORD src1_sel:WORD_1
	v_mul_f16_sdwa v42, v68, v46 dst_sel:DWORD dst_unused:UNUSED_PAD src0_sel:DWORD src1_sel:WORD_1
	v_sub_f16_e32 v26, v26, v27
	v_pack_b32_f16 v23, v55, v23
	v_fmamk_f16 v55, v61, 0xbaee, v22
	v_fmac_f16_e32 v22, 0x3aee, v61
	v_fmamk_f16 v61, v24, 0x3aee, v40
	v_fmac_f16_e32 v40, 0xbaee, v24
	v_fma_f16 v24, -0.5, v54, v66
	v_add_f16_e32 v27, v67, v27
	v_fma_f16 v38, -0.5, v76, v38
	v_add_f16_e32 v47, v47, v51
	v_add_f16_e32 v51, v28, v29
	v_sub_f16_e32 v54, v43, v44
	v_add_f16_e32 v66, v65, v28
	v_add_f16_e32 v67, v43, v44
	v_add_f16_e32 v43, v35, v43
	v_fma_f16 v30, v88, v45, -v30
	v_fma_f16 v31, v68, v46, -v31
	v_fmac_f16_e32 v41, v39, v45
	v_fmac_f16_e32 v42, v37, v46
	s_waitcnt vmcnt(3)
	v_mul_f16_sdwa v37, v36, v48 dst_sel:DWORD dst_unused:UNUSED_PAD src0_sel:DWORD src1_sel:WORD_1
	v_mul_f16_sdwa v39, v34, v49 dst_sel:DWORD dst_unused:UNUSED_PAD src0_sel:DWORD src1_sel:WORD_1
	s_waitcnt lgkmcnt(3)
	v_mul_f16_sdwa v45, v89, v48 dst_sel:DWORD dst_unused:UNUSED_PAD src0_sel:DWORD src1_sel:WORD_1
	v_mul_f16_sdwa v46, v69, v49 dst_sel:DWORD dst_unused:UNUSED_PAD src0_sel:DWORD src1_sel:WORD_1
	;; [unrolled: 25-line block ×3, first 2 shown]
	v_sub_f16_e32 v30, v30, v31
	v_pack_b32_f16 v27, v47, v27
	v_fmamk_f16 v47, v54, 0xbaee, v26
	v_fmac_f16_e32 v26, 0x3aee, v54
	v_fmamk_f16 v54, v28, 0x3aee, v35
	v_fmac_f16_e32 v35, 0xbaee, v28
	v_fma_f16 v28, -0.5, v44, v64
	v_add_f16_e32 v31, v65, v31
	v_fma_f16 v32, -0.5, v66, v32
	v_add_f16_e32 v41, v41, v42
	v_add_f16_e32 v42, v37, v39
	v_fma_f16 v34, v90, v57, -v34
	v_fma_f16 v36, v70, v58, -v36
	v_fmac_f16_e32 v48, v33, v57
	v_fmac_f16_e32 v49, v21, v58
	s_waitcnt vmcnt(1)
	v_mul_f16_sdwa v21, v19, v59 dst_sel:DWORD dst_unused:UNUSED_PAD src0_sel:DWORD src1_sel:WORD_1
	s_waitcnt lgkmcnt(1)
	v_mul_f16_sdwa v57, v91, v59 dst_sel:DWORD dst_unused:UNUSED_PAD src0_sel:DWORD src1_sel:WORD_1
	v_mul_f16_sdwa v58, v71, v60 dst_sel:DWORD dst_unused:UNUSED_PAD src0_sel:DWORD src1_sel:WORD_1
	s_waitcnt vmcnt(0)
	v_mul_f16_sdwa v64, v17, v6 dst_sel:DWORD dst_unused:UNUSED_PAD src0_sel:DWORD src1_sel:WORD_1
	v_mul_f16_sdwa v65, v18, v7 dst_sel:DWORD dst_unused:UNUSED_PAD src0_sel:DWORD src1_sel:WORD_1
	s_waitcnt lgkmcnt(0)
	v_mul_f16_sdwa v66, v9, v6 dst_sel:DWORD dst_unused:UNUSED_PAD src0_sel:DWORD src1_sel:WORD_1
	v_mul_f16_sdwa v67, v72, v7 dst_sel:DWORD dst_unused:UNUSED_PAD src0_sel:DWORD src1_sel:WORD_1
	v_pack_b32_f16 v22, v40, v22
	v_pack_b32_f16 v40, v61, v55
	v_add_f16_e32 v55, v63, v37
	v_mul_f16_sdwa v33, v20, v60 dst_sel:DWORD dst_unused:UNUSED_PAD src0_sel:DWORD src1_sel:WORD_1
	v_sub_f16_e32 v44, v45, v46
	v_add_f16_e32 v61, v45, v46
	v_add_f16_e32 v45, v16, v45
	v_pack_b32_f16 v29, v43, v29
	v_pack_b32_f16 v24, v38, v24
	;; [unrolled: 1-line block ×3, first 2 shown]
	v_fmamk_f16 v43, v51, 0xbaee, v28
	v_fmac_f16_e32 v28, 0x3aee, v51
	v_fmamk_f16 v51, v30, 0x3aee, v32
	v_fmac_f16_e32 v32, 0xbaee, v30
	v_fma_f16 v30, -0.5, v42, v63
	v_add_f16_e32 v53, v62, v34
	v_fma_f16 v21, v91, v59, -v21
	v_fmac_f16_e32 v57, v19, v59
	v_fmac_f16_e32 v58, v20, v60
	v_fma_f16 v9, v9, v6, -v64
	v_fma_f16 v19, v72, v7, -v65
	v_fmac_f16_e32 v66, v17, v6
	v_fmac_f16_e32 v67, v18, v7
	v_sub_f16_e32 v37, v37, v39
	v_add_f16_e32 v39, v55, v39
	v_add_f16_e32 v55, v48, v49
	v_fma_f16 v33, v71, v60, -v33
	v_add_f16_e32 v42, v45, v46
	v_add_f16_e32 v45, v34, v36
	v_sub_f16_e32 v46, v48, v49
	v_add_f16_e32 v48, v15, v48
	v_fma_f16 v16, -0.5, v61, v16
	v_pack_b32_f16 v6, v41, v31
	v_pack_b32_f16 v17, v54, v47
	v_fmamk_f16 v18, v44, 0xbaee, v30
	v_fmac_f16_e32 v30, 0x3aee, v44
	v_add_f16_e32 v31, v53, v36
	v_add_f16_e32 v41, v81, v21
	;; [unrolled: 1-line block ×5, first 2 shown]
	v_sub_f16_e32 v34, v34, v36
	v_fma_f16 v15, -0.5, v55, v15
	v_add_f16_e32 v36, v21, v33
	v_pack_b32_f16 v7, v35, v26
	v_fma_f16 v26, -0.5, v45, v62
	v_add_f16_e32 v35, v48, v49
	v_add_f16_e32 v45, v13, v57
	;; [unrolled: 1-line block ×4, first 2 shown]
	v_fmamk_f16 v20, v37, 0x3aee, v16
	v_sub_f16_e32 v21, v21, v33
	v_sub_f16_e32 v48, v66, v67
	;; [unrolled: 1-line block ×3, first 2 shown]
	v_pack_b32_f16 v39, v42, v39
	global_store_dword v[0:1], v6, off offset:80
	v_pack_b32_f16 v6, v32, v28
	v_add_f16_e32 v33, v41, v33
	v_fma_f16 v13, -0.5, v44, v13
	v_fma_f16 v41, -0.5, v47, v82
	v_fma_f16 v8, -0.5, v53, v8
	v_fmac_f16_e32 v16, 0xbaee, v37
	v_pack_b32_f16 v28, v51, v43
	v_sub_f16_e32 v37, v57, v58
	v_fmamk_f16 v32, v34, 0x3aee, v15
	v_fmac_f16_e32 v15, 0xbaee, v34
	v_fma_f16 v34, -0.5, v36, v81
	global_store_dword v[2:3], v17, off offset:500
	v_fmamk_f16 v17, v46, 0xbaee, v26
	v_fmac_f16_e32 v26, 0x3aee, v46
	v_add_f16_e32 v36, v45, v58
	v_add_f16_e32 v19, v49, v19
	;; [unrolled: 1-line block ×3, first 2 shown]
	global_store_dword v[0:1], v39, off offset:60
	v_pack_b32_f16 v18, v20, v18
	global_store_dword v[0:1], v6, off offset:280
	global_store_dword v[0:1], v28, off offset:480
	v_fmamk_f16 v20, v21, 0x3aee, v13
	v_fmac_f16_e32 v13, 0xbaee, v21
	v_fmamk_f16 v21, v48, 0xbaee, v41
	v_fmac_f16_e32 v41, 0x3aee, v48
	;; [unrolled: 2-line block ×3, first 2 shown]
	v_pack_b32_f16 v31, v35, v31
	v_pack_b32_f16 v16, v16, v30
	v_fmamk_f16 v6, v37, 0xbaee, v34
	v_fmac_f16_e32 v34, 0x3aee, v37
	v_pack_b32_f16 v9, v42, v19
	v_pack_b32_f16 v19, v36, v33
	;; [unrolled: 1-line block ×5, first 2 shown]
	global_store_dword v[0:1], v31, off offset:40
	global_store_dword v[0:1], v16, off offset:260
	global_store_dword v[0:1], v18, off offset:460
	global_store_dword v[0:1], v9, off
	v_pack_b32_f16 v9, v28, v21
	v_pack_b32_f16 v13, v13, v34
	;; [unrolled: 1-line block ×6, first 2 shown]
	global_store_dword v[0:1], v19, off offset:20
	v_pack_b32_f16 v6, v20, v6
	global_store_dword v[0:1], v15, off offset:240
	global_store_dword v[0:1], v17, off offset:440
	;; [unrolled: 1-line block ×20, first 2 shown]
.LBB0_14:
	s_endpgm
	.section	.rodata,"a",@progbits
	.p2align	6, 0x0
	.amdhsa_kernel fft_rtc_back_len150_factors_10_5_3_wgs_60_tpt_5_halfLds_half_ip_CI_unitstride_sbrr_dirReg
		.amdhsa_group_segment_fixed_size 0
		.amdhsa_private_segment_fixed_size 0
		.amdhsa_kernarg_size 88
		.amdhsa_user_sgpr_count 6
		.amdhsa_user_sgpr_private_segment_buffer 1
		.amdhsa_user_sgpr_dispatch_ptr 0
		.amdhsa_user_sgpr_queue_ptr 0
		.amdhsa_user_sgpr_kernarg_segment_ptr 1
		.amdhsa_user_sgpr_dispatch_id 0
		.amdhsa_user_sgpr_flat_scratch_init 0
		.amdhsa_user_sgpr_private_segment_size 0
		.amdhsa_wavefront_size32 1
		.amdhsa_uses_dynamic_stack 0
		.amdhsa_system_sgpr_private_segment_wavefront_offset 0
		.amdhsa_system_sgpr_workgroup_id_x 1
		.amdhsa_system_sgpr_workgroup_id_y 0
		.amdhsa_system_sgpr_workgroup_id_z 0
		.amdhsa_system_sgpr_workgroup_info 0
		.amdhsa_system_vgpr_workitem_id 0
		.amdhsa_next_free_vgpr 107
		.amdhsa_next_free_sgpr 21
		.amdhsa_reserve_vcc 1
		.amdhsa_reserve_flat_scratch 0
		.amdhsa_float_round_mode_32 0
		.amdhsa_float_round_mode_16_64 0
		.amdhsa_float_denorm_mode_32 3
		.amdhsa_float_denorm_mode_16_64 3
		.amdhsa_dx10_clamp 1
		.amdhsa_ieee_mode 1
		.amdhsa_fp16_overflow 0
		.amdhsa_workgroup_processor_mode 1
		.amdhsa_memory_ordered 1
		.amdhsa_forward_progress 0
		.amdhsa_shared_vgpr_count 0
		.amdhsa_exception_fp_ieee_invalid_op 0
		.amdhsa_exception_fp_denorm_src 0
		.amdhsa_exception_fp_ieee_div_zero 0
		.amdhsa_exception_fp_ieee_overflow 0
		.amdhsa_exception_fp_ieee_underflow 0
		.amdhsa_exception_fp_ieee_inexact 0
		.amdhsa_exception_int_div_zero 0
	.end_amdhsa_kernel
	.text
.Lfunc_end0:
	.size	fft_rtc_back_len150_factors_10_5_3_wgs_60_tpt_5_halfLds_half_ip_CI_unitstride_sbrr_dirReg, .Lfunc_end0-fft_rtc_back_len150_factors_10_5_3_wgs_60_tpt_5_halfLds_half_ip_CI_unitstride_sbrr_dirReg
                                        ; -- End function
	.section	.AMDGPU.csdata,"",@progbits
; Kernel info:
; codeLenInByte = 11700
; NumSgprs: 23
; NumVgprs: 107
; ScratchSize: 0
; MemoryBound: 0
; FloatMode: 240
; IeeeMode: 1
; LDSByteSize: 0 bytes/workgroup (compile time only)
; SGPRBlocks: 2
; VGPRBlocks: 13
; NumSGPRsForWavesPerEU: 23
; NumVGPRsForWavesPerEU: 107
; Occupancy: 9
; WaveLimiterHint : 1
; COMPUTE_PGM_RSRC2:SCRATCH_EN: 0
; COMPUTE_PGM_RSRC2:USER_SGPR: 6
; COMPUTE_PGM_RSRC2:TRAP_HANDLER: 0
; COMPUTE_PGM_RSRC2:TGID_X_EN: 1
; COMPUTE_PGM_RSRC2:TGID_Y_EN: 0
; COMPUTE_PGM_RSRC2:TGID_Z_EN: 0
; COMPUTE_PGM_RSRC2:TIDIG_COMP_CNT: 0
	.text
	.p2alignl 6, 3214868480
	.fill 48, 4, 3214868480
	.type	__hip_cuid_5a7fd6906f2bb0af,@object ; @__hip_cuid_5a7fd6906f2bb0af
	.section	.bss,"aw",@nobits
	.globl	__hip_cuid_5a7fd6906f2bb0af
__hip_cuid_5a7fd6906f2bb0af:
	.byte	0                               ; 0x0
	.size	__hip_cuid_5a7fd6906f2bb0af, 1

	.ident	"AMD clang version 19.0.0git (https://github.com/RadeonOpenCompute/llvm-project roc-6.4.0 25133 c7fe45cf4b819c5991fe208aaa96edf142730f1d)"
	.section	".note.GNU-stack","",@progbits
	.addrsig
	.addrsig_sym __hip_cuid_5a7fd6906f2bb0af
	.amdgpu_metadata
---
amdhsa.kernels:
  - .args:
      - .actual_access:  read_only
        .address_space:  global
        .offset:         0
        .size:           8
        .value_kind:     global_buffer
      - .offset:         8
        .size:           8
        .value_kind:     by_value
      - .actual_access:  read_only
        .address_space:  global
        .offset:         16
        .size:           8
        .value_kind:     global_buffer
      - .actual_access:  read_only
        .address_space:  global
        .offset:         24
        .size:           8
        .value_kind:     global_buffer
      - .offset:         32
        .size:           8
        .value_kind:     by_value
      - .actual_access:  read_only
        .address_space:  global
        .offset:         40
        .size:           8
        .value_kind:     global_buffer
      - .actual_access:  read_only
        .address_space:  global
        .offset:         48
        .size:           8
        .value_kind:     global_buffer
      - .offset:         56
        .size:           4
        .value_kind:     by_value
      - .actual_access:  read_only
        .address_space:  global
        .offset:         64
        .size:           8
        .value_kind:     global_buffer
      - .actual_access:  read_only
        .address_space:  global
        .offset:         72
        .size:           8
        .value_kind:     global_buffer
      - .address_space:  global
        .offset:         80
        .size:           8
        .value_kind:     global_buffer
    .group_segment_fixed_size: 0
    .kernarg_segment_align: 8
    .kernarg_segment_size: 88
    .language:       OpenCL C
    .language_version:
      - 2
      - 0
    .max_flat_workgroup_size: 60
    .name:           fft_rtc_back_len150_factors_10_5_3_wgs_60_tpt_5_halfLds_half_ip_CI_unitstride_sbrr_dirReg
    .private_segment_fixed_size: 0
    .sgpr_count:     23
    .sgpr_spill_count: 0
    .symbol:         fft_rtc_back_len150_factors_10_5_3_wgs_60_tpt_5_halfLds_half_ip_CI_unitstride_sbrr_dirReg.kd
    .uniform_work_group_size: 1
    .uses_dynamic_stack: false
    .vgpr_count:     107
    .vgpr_spill_count: 0
    .wavefront_size: 32
    .workgroup_processor_mode: 1
amdhsa.target:   amdgcn-amd-amdhsa--gfx1030
amdhsa.version:
  - 1
  - 2
...

	.end_amdgpu_metadata
